;; amdgpu-corpus repo=ROCm/hipBLASLt kind=compiled arch=gfx1250 opt=O3
	.amdgcn_target "amdgcn-amd-amdhsa--gfx1250"
	.amdhsa_code_object_version 6
	.section	.text._Z11fill_kernelIfZ21hipblaslt_init_deviceIfEv8ABC_dims24hipblaslt_initializationbPT_mmmmmEUlmE_EvS4_mmT0_,"axG",@progbits,_Z11fill_kernelIfZ21hipblaslt_init_deviceIfEv8ABC_dims24hipblaslt_initializationbPT_mmmmmEUlmE_EvS4_mmT0_,comdat
	.protected	_Z11fill_kernelIfZ21hipblaslt_init_deviceIfEv8ABC_dims24hipblaslt_initializationbPT_mmmmmEUlmE_EvS4_mmT0_ ; -- Begin function _Z11fill_kernelIfZ21hipblaslt_init_deviceIfEv8ABC_dims24hipblaslt_initializationbPT_mmmmmEUlmE_EvS4_mmT0_
	.globl	_Z11fill_kernelIfZ21hipblaslt_init_deviceIfEv8ABC_dims24hipblaslt_initializationbPT_mmmmmEUlmE_EvS4_mmT0_
	.p2align	8
	.type	_Z11fill_kernelIfZ21hipblaslt_init_deviceIfEv8ABC_dims24hipblaslt_initializationbPT_mmmmmEUlmE_EvS4_mmT0_,@function
_Z11fill_kernelIfZ21hipblaslt_init_deviceIfEv8ABC_dims24hipblaslt_initializationbPT_mmmmmEUlmE_EvS4_mmT0_: ; @_Z11fill_kernelIfZ21hipblaslt_init_deviceIfEv8ABC_dims24hipblaslt_initializationbPT_mmmmmEUlmE_EvS4_mmT0_
; %bb.0:
	s_clause 0x1
	s_load_b32 s2, s[0:1], 0x1b4
	s_load_b128 s[4:7], s[0:1], 0x0
	s_bfe_u32 s3, ttmp6, 0x4000c
	s_and_b32 s8, ttmp6, 15
	s_add_co_i32 s3, s3, 1
	s_getreg_b32 s9, hwreg(HW_REG_IB_STS2, 6, 4)
	s_mul_i32 s3, ttmp9, s3
	v_mov_b32_e32 v1, 0
	s_add_co_i32 s8, s8, s3
	s_wait_kmcnt 0x0
	s_and_b32 s2, s2, 0xffff
	s_cmp_eq_u32 s9, 0
	s_cselect_b32 s3, ttmp9, s8
	s_delay_alu instid0(SALU_CYCLE_1) | instskip(SKIP_1) | instid1(VALU_DEP_1)
	v_mad_u32 v0, s3, s2, v0
	s_mov_b32 s2, exec_lo
	v_cmpx_gt_u64_e64 s[6:7], v[0:1]
	s_cbranch_execz .LBB0_2
; %bb.1:
	s_load_b64 s[2:3], s[0:1], 0x10
	s_wait_kmcnt 0x0
	v_add_nc_u64_e32 v[0:1], s[2:3], v[0:1]
	s_mov_b32 s2, 0x19660d
	s_delay_alu instid0(VALU_DEP_1) | instid1(SALU_CYCLE_1)
	v_mad_nc_u64_u32 v[2:3], v0, s2, 0x3c6ef35f
	s_delay_alu instid0(VALU_DEP_1) | instskip(SKIP_1) | instid1(VALU_DEP_2)
	v_mad_u32 v3, 0x19660d, v1, v3
	v_lshl_add_u64 v[0:1], v[0:1], 2, s[4:5]
	v_lshlrev_b64_e32 v[4:5], 13, v[2:3]
	s_delay_alu instid0(VALU_DEP_1) | instskip(NEXT) | instid1(VALU_DEP_2)
	v_xor_b32_e32 v3, v5, v3
	v_xor_b32_e32 v2, v4, v2
	s_delay_alu instid0(VALU_DEP_1) | instskip(NEXT) | instid1(VALU_DEP_1)
	v_lshrrev_b64 v[4:5], 17, v[2:3]
	v_xor_b32_e32 v3, v5, v3
	s_delay_alu instid0(VALU_DEP_2) | instskip(NEXT) | instid1(VALU_DEP_1)
	v_xor_b32_e32 v2, v4, v2
	v_lshlrev_b64_e32 v[4:5], 5, v[2:3]
	s_delay_alu instid0(VALU_DEP_1) | instskip(NEXT) | instid1(VALU_DEP_2)
	v_xor_b32_e32 v3, v5, v3
	v_xor_b32_e32 v2, v4, v2
	s_delay_alu instid0(VALU_DEP_1) | instskip(NEXT) | instid1(VALU_DEP_1)
	v_lshlrev_b64_e32 v[4:5], 13, v[2:3]
	v_xor_b32_e32 v3, v5, v3
	s_delay_alu instid0(VALU_DEP_2) | instskip(NEXT) | instid1(VALU_DEP_1)
	v_xor_b32_e32 v2, v4, v2
	v_lshrrev_b64 v[4:5], 17, v[2:3]
	s_delay_alu instid0(VALU_DEP_1) | instskip(NEXT) | instid1(VALU_DEP_2)
	v_xor_b32_e32 v3, v5, v3
	v_xor_b32_e32 v2, v4, v2
	s_delay_alu instid0(VALU_DEP_1) | instskip(NEXT) | instid1(VALU_DEP_1)
	v_lshlrev_b64_e32 v[4:5], 5, v[2:3]
	v_xor_b32_e32 v3, v5, v3
	s_delay_alu instid0(VALU_DEP_2) | instskip(NEXT) | instid1(VALU_DEP_1)
	v_xor_b32_e32 v2, v4, v2
	v_lshlrev_b64_e32 v[4:5], 13, v[2:3]
	s_delay_alu instid0(VALU_DEP_1) | instskip(NEXT) | instid1(VALU_DEP_2)
	v_xor_b32_e32 v3, v5, v3
	v_xor_b32_e32 v2, v4, v2
	s_delay_alu instid0(VALU_DEP_1) | instskip(NEXT) | instid1(VALU_DEP_1)
	v_alignbit_b32 v3, v3, v2, 17
	v_xor_b32_e32 v2, v3, v2
	s_delay_alu instid0(VALU_DEP_1) | instskip(NEXT) | instid1(VALU_DEP_1)
	v_lshlrev_b32_e32 v3, 5, v2
	v_xor_b32_e32 v2, v3, v2
	s_delay_alu instid0(VALU_DEP_1) | instskip(NEXT) | instid1(VALU_DEP_1)
	v_mul_hi_u32 v3, 0x51eb851f, v2
	v_lshrrev_b32_e32 v3, 5, v3
	s_delay_alu instid0(VALU_DEP_1) | instskip(NEXT) | instid1(VALU_DEP_1)
	v_mul_lo_u32 v3, 0x64, v3
	v_sub_nc_u32_e32 v2, v2, v3
	global_load_b32 v2, v2, s[0:1] offset:24 scale_offset
	s_wait_loadcnt 0x0
	global_store_b32 v[0:1], v2, off
.LBB0_2:
	s_endpgm
	.section	.rodata,"a",@progbits
	.p2align	6, 0x0
	.amdhsa_kernel _Z11fill_kernelIfZ21hipblaslt_init_deviceIfEv8ABC_dims24hipblaslt_initializationbPT_mmmmmEUlmE_EvS4_mmT0_
		.amdhsa_group_segment_fixed_size 0
		.amdhsa_private_segment_fixed_size 0
		.amdhsa_kernarg_size 680
		.amdhsa_user_sgpr_count 2
		.amdhsa_user_sgpr_dispatch_ptr 0
		.amdhsa_user_sgpr_queue_ptr 0
		.amdhsa_user_sgpr_kernarg_segment_ptr 1
		.amdhsa_user_sgpr_dispatch_id 0
		.amdhsa_user_sgpr_kernarg_preload_length 0
		.amdhsa_user_sgpr_kernarg_preload_offset 0
		.amdhsa_user_sgpr_private_segment_size 0
		.amdhsa_wavefront_size32 1
		.amdhsa_uses_dynamic_stack 0
		.amdhsa_enable_private_segment 0
		.amdhsa_system_sgpr_workgroup_id_x 1
		.amdhsa_system_sgpr_workgroup_id_y 0
		.amdhsa_system_sgpr_workgroup_id_z 0
		.amdhsa_system_sgpr_workgroup_info 0
		.amdhsa_system_vgpr_workitem_id 0
		.amdhsa_next_free_vgpr 6
		.amdhsa_next_free_sgpr 10
		.amdhsa_named_barrier_count 0
		.amdhsa_reserve_vcc 0
		.amdhsa_float_round_mode_32 0
		.amdhsa_float_round_mode_16_64 0
		.amdhsa_float_denorm_mode_32 3
		.amdhsa_float_denorm_mode_16_64 3
		.amdhsa_fp16_overflow 0
		.amdhsa_memory_ordered 1
		.amdhsa_forward_progress 1
		.amdhsa_inst_pref_size 4
		.amdhsa_round_robin_scheduling 0
		.amdhsa_exception_fp_ieee_invalid_op 0
		.amdhsa_exception_fp_denorm_src 0
		.amdhsa_exception_fp_ieee_div_zero 0
		.amdhsa_exception_fp_ieee_overflow 0
		.amdhsa_exception_fp_ieee_underflow 0
		.amdhsa_exception_fp_ieee_inexact 0
		.amdhsa_exception_int_div_zero 0
	.end_amdhsa_kernel
	.section	.text._Z11fill_kernelIfZ21hipblaslt_init_deviceIfEv8ABC_dims24hipblaslt_initializationbPT_mmmmmEUlmE_EvS4_mmT0_,"axG",@progbits,_Z11fill_kernelIfZ21hipblaslt_init_deviceIfEv8ABC_dims24hipblaslt_initializationbPT_mmmmmEUlmE_EvS4_mmT0_,comdat
.Lfunc_end0:
	.size	_Z11fill_kernelIfZ21hipblaslt_init_deviceIfEv8ABC_dims24hipblaslt_initializationbPT_mmmmmEUlmE_EvS4_mmT0_, .Lfunc_end0-_Z11fill_kernelIfZ21hipblaslt_init_deviceIfEv8ABC_dims24hipblaslt_initializationbPT_mmmmmEUlmE_EvS4_mmT0_
                                        ; -- End function
	.set _Z11fill_kernelIfZ21hipblaslt_init_deviceIfEv8ABC_dims24hipblaslt_initializationbPT_mmmmmEUlmE_EvS4_mmT0_.num_vgpr, 6
	.set _Z11fill_kernelIfZ21hipblaslt_init_deviceIfEv8ABC_dims24hipblaslt_initializationbPT_mmmmmEUlmE_EvS4_mmT0_.num_agpr, 0
	.set _Z11fill_kernelIfZ21hipblaslt_init_deviceIfEv8ABC_dims24hipblaslt_initializationbPT_mmmmmEUlmE_EvS4_mmT0_.numbered_sgpr, 10
	.set _Z11fill_kernelIfZ21hipblaslt_init_deviceIfEv8ABC_dims24hipblaslt_initializationbPT_mmmmmEUlmE_EvS4_mmT0_.num_named_barrier, 0
	.set _Z11fill_kernelIfZ21hipblaslt_init_deviceIfEv8ABC_dims24hipblaslt_initializationbPT_mmmmmEUlmE_EvS4_mmT0_.private_seg_size, 0
	.set _Z11fill_kernelIfZ21hipblaslt_init_deviceIfEv8ABC_dims24hipblaslt_initializationbPT_mmmmmEUlmE_EvS4_mmT0_.uses_vcc, 0
	.set _Z11fill_kernelIfZ21hipblaslt_init_deviceIfEv8ABC_dims24hipblaslt_initializationbPT_mmmmmEUlmE_EvS4_mmT0_.uses_flat_scratch, 0
	.set _Z11fill_kernelIfZ21hipblaslt_init_deviceIfEv8ABC_dims24hipblaslt_initializationbPT_mmmmmEUlmE_EvS4_mmT0_.has_dyn_sized_stack, 0
	.set _Z11fill_kernelIfZ21hipblaslt_init_deviceIfEv8ABC_dims24hipblaslt_initializationbPT_mmmmmEUlmE_EvS4_mmT0_.has_recursion, 0
	.set _Z11fill_kernelIfZ21hipblaslt_init_deviceIfEv8ABC_dims24hipblaslt_initializationbPT_mmmmmEUlmE_EvS4_mmT0_.has_indirect_call, 0
	.section	.AMDGPU.csdata,"",@progbits
; Kernel info:
; codeLenInByte = 396
; TotalNumSgprs: 10
; NumVgprs: 6
; ScratchSize: 0
; MemoryBound: 0
; FloatMode: 240
; IeeeMode: 1
; LDSByteSize: 0 bytes/workgroup (compile time only)
; SGPRBlocks: 0
; VGPRBlocks: 0
; NumSGPRsForWavesPerEU: 10
; NumVGPRsForWavesPerEU: 6
; NamedBarCnt: 0
; Occupancy: 16
; WaveLimiterHint : 0
; COMPUTE_PGM_RSRC2:SCRATCH_EN: 0
; COMPUTE_PGM_RSRC2:USER_SGPR: 2
; COMPUTE_PGM_RSRC2:TRAP_HANDLER: 0
; COMPUTE_PGM_RSRC2:TGID_X_EN: 1
; COMPUTE_PGM_RSRC2:TGID_Y_EN: 0
; COMPUTE_PGM_RSRC2:TGID_Z_EN: 0
; COMPUTE_PGM_RSRC2:TIDIG_COMP_CNT: 0
	.section	.text._Z11fill_kernelIfZ21hipblaslt_init_deviceIfEv8ABC_dims24hipblaslt_initializationbPT_mmmmmEUlmE0_EvS4_mmT0_,"axG",@progbits,_Z11fill_kernelIfZ21hipblaslt_init_deviceIfEv8ABC_dims24hipblaslt_initializationbPT_mmmmmEUlmE0_EvS4_mmT0_,comdat
	.protected	_Z11fill_kernelIfZ21hipblaslt_init_deviceIfEv8ABC_dims24hipblaslt_initializationbPT_mmmmmEUlmE0_EvS4_mmT0_ ; -- Begin function _Z11fill_kernelIfZ21hipblaslt_init_deviceIfEv8ABC_dims24hipblaslt_initializationbPT_mmmmmEUlmE0_EvS4_mmT0_
	.globl	_Z11fill_kernelIfZ21hipblaslt_init_deviceIfEv8ABC_dims24hipblaslt_initializationbPT_mmmmmEUlmE0_EvS4_mmT0_
	.p2align	8
	.type	_Z11fill_kernelIfZ21hipblaslt_init_deviceIfEv8ABC_dims24hipblaslt_initializationbPT_mmmmmEUlmE0_EvS4_mmT0_,@function
_Z11fill_kernelIfZ21hipblaslt_init_deviceIfEv8ABC_dims24hipblaslt_initializationbPT_mmmmmEUlmE0_EvS4_mmT0_: ; @_Z11fill_kernelIfZ21hipblaslt_init_deviceIfEv8ABC_dims24hipblaslt_initializationbPT_mmmmmEUlmE0_EvS4_mmT0_
; %bb.0:
	s_clause 0x1
	s_load_b32 s2, s[0:1], 0x2c
	s_load_b128 s[4:7], s[0:1], 0x0
	s_bfe_u32 s3, ttmp6, 0x4000c
	s_and_b32 s8, ttmp6, 15
	s_add_co_i32 s3, s3, 1
	s_getreg_b32 s9, hwreg(HW_REG_IB_STS2, 6, 4)
	s_mul_i32 s3, ttmp9, s3
	v_mov_b32_e32 v1, 0
	s_add_co_i32 s8, s8, s3
	s_wait_kmcnt 0x0
	s_and_b32 s2, s2, 0xffff
	s_cmp_eq_u32 s9, 0
	s_cselect_b32 s3, ttmp9, s8
	s_delay_alu instid0(SALU_CYCLE_1) | instskip(SKIP_1) | instid1(VALU_DEP_1)
	v_mad_u32 v0, s3, s2, v0
	s_mov_b32 s2, exec_lo
	v_cmpx_gt_u64_e64 s[6:7], v[0:1]
	s_cbranch_execz .LBB1_2
; %bb.1:
	s_load_b64 s[0:1], s[0:1], 0x10
	s_wait_kmcnt 0x0
	v_add_nc_u64_e32 v[0:1], s[0:1], v[0:1]
	s_mov_b32 s0, 0x19660d
	s_delay_alu instid0(VALU_DEP_1) | instid1(SALU_CYCLE_1)
	v_mad_nc_u64_u32 v[2:3], v0, s0, 0x3c6ef35f
	s_delay_alu instid0(VALU_DEP_1) | instskip(SKIP_1) | instid1(VALU_DEP_2)
	v_mad_u32 v3, 0x19660d, v1, v3
	v_lshl_add_u64 v[0:1], v[0:1], 2, s[4:5]
	v_lshlrev_b64_e32 v[4:5], 13, v[2:3]
	s_delay_alu instid0(VALU_DEP_1) | instskip(NEXT) | instid1(VALU_DEP_2)
	v_xor_b32_e32 v3, v5, v3
	v_xor_b32_e32 v2, v4, v2
	s_delay_alu instid0(VALU_DEP_1) | instskip(NEXT) | instid1(VALU_DEP_1)
	v_lshrrev_b64 v[4:5], 17, v[2:3]
	v_xor_b32_e32 v3, v5, v3
	s_delay_alu instid0(VALU_DEP_2) | instskip(NEXT) | instid1(VALU_DEP_1)
	v_xor_b32_e32 v2, v4, v2
	v_lshlrev_b64_e32 v[4:5], 5, v[2:3]
	s_delay_alu instid0(VALU_DEP_1) | instskip(NEXT) | instid1(VALU_DEP_2)
	v_xor_b32_e32 v3, v5, v3
	v_xor_b32_e32 v2, v4, v2
	s_delay_alu instid0(VALU_DEP_1) | instskip(NEXT) | instid1(VALU_DEP_1)
	v_lshlrev_b64_e32 v[4:5], 13, v[2:3]
	v_xor_b32_e32 v3, v5, v3
	s_delay_alu instid0(VALU_DEP_2) | instskip(NEXT) | instid1(VALU_DEP_1)
	v_xor_b32_e32 v2, v4, v2
	v_lshrrev_b64 v[4:5], 17, v[2:3]
	s_delay_alu instid0(VALU_DEP_1) | instskip(NEXT) | instid1(VALU_DEP_2)
	v_xor_b32_e32 v3, v5, v3
	v_xor_b32_e32 v2, v4, v2
	s_delay_alu instid0(VALU_DEP_1) | instskip(NEXT) | instid1(VALU_DEP_1)
	v_lshlrev_b64_e32 v[4:5], 5, v[2:3]
	v_xor_b32_e32 v3, v5, v3
	s_delay_alu instid0(VALU_DEP_2) | instskip(NEXT) | instid1(VALU_DEP_1)
	v_xor_b32_e32 v2, v4, v2
	v_lshlrev_b64_e32 v[4:5], 13, v[2:3]
	s_delay_alu instid0(VALU_DEP_1) | instskip(NEXT) | instid1(VALU_DEP_2)
	v_xor_b32_e32 v3, v5, v3
	v_xor_b32_e32 v2, v4, v2
	s_delay_alu instid0(VALU_DEP_1) | instskip(NEXT) | instid1(VALU_DEP_1)
	v_alignbit_b32 v3, v3, v2, 17
	v_xor_b32_e32 v2, v3, v2
	s_delay_alu instid0(VALU_DEP_1) | instskip(NEXT) | instid1(VALU_DEP_1)
	v_lshlrev_b32_e32 v3, 5, v2
	v_xor_b32_e32 v2, v3, v2
	s_delay_alu instid0(VALU_DEP_1) | instskip(NEXT) | instid1(VALU_DEP_1)
	v_mul_hi_u32 v3, 0xcccccccd, v2
	v_lshrrev_b32_e32 v3, 3, v3
	s_delay_alu instid0(VALU_DEP_1) | instskip(NEXT) | instid1(VALU_DEP_1)
	v_mul_lo_u32 v3, v3, 10
	v_sub_nc_u32_e32 v2, v2, v3
	s_delay_alu instid0(VALU_DEP_1) | instskip(NEXT) | instid1(VALU_DEP_1)
	v_add_nc_u32_e32 v2, 1, v2
	v_cvt_f32_u32_e32 v2, v2
	global_store_b32 v[0:1], v2, off
.LBB1_2:
	s_endpgm
	.section	.rodata,"a",@progbits
	.p2align	6, 0x0
	.amdhsa_kernel _Z11fill_kernelIfZ21hipblaslt_init_deviceIfEv8ABC_dims24hipblaslt_initializationbPT_mmmmmEUlmE0_EvS4_mmT0_
		.amdhsa_group_segment_fixed_size 0
		.amdhsa_private_segment_fixed_size 0
		.amdhsa_kernarg_size 288
		.amdhsa_user_sgpr_count 2
		.amdhsa_user_sgpr_dispatch_ptr 0
		.amdhsa_user_sgpr_queue_ptr 0
		.amdhsa_user_sgpr_kernarg_segment_ptr 1
		.amdhsa_user_sgpr_dispatch_id 0
		.amdhsa_user_sgpr_kernarg_preload_length 0
		.amdhsa_user_sgpr_kernarg_preload_offset 0
		.amdhsa_user_sgpr_private_segment_size 0
		.amdhsa_wavefront_size32 1
		.amdhsa_uses_dynamic_stack 0
		.amdhsa_enable_private_segment 0
		.amdhsa_system_sgpr_workgroup_id_x 1
		.amdhsa_system_sgpr_workgroup_id_y 0
		.amdhsa_system_sgpr_workgroup_id_z 0
		.amdhsa_system_sgpr_workgroup_info 0
		.amdhsa_system_vgpr_workitem_id 0
		.amdhsa_next_free_vgpr 6
		.amdhsa_next_free_sgpr 10
		.amdhsa_named_barrier_count 0
		.amdhsa_reserve_vcc 0
		.amdhsa_float_round_mode_32 0
		.amdhsa_float_round_mode_16_64 0
		.amdhsa_float_denorm_mode_32 3
		.amdhsa_float_denorm_mode_16_64 3
		.amdhsa_fp16_overflow 0
		.amdhsa_memory_ordered 1
		.amdhsa_forward_progress 1
		.amdhsa_inst_pref_size 4
		.amdhsa_round_robin_scheduling 0
		.amdhsa_exception_fp_ieee_invalid_op 0
		.amdhsa_exception_fp_denorm_src 0
		.amdhsa_exception_fp_ieee_div_zero 0
		.amdhsa_exception_fp_ieee_overflow 0
		.amdhsa_exception_fp_ieee_underflow 0
		.amdhsa_exception_fp_ieee_inexact 0
		.amdhsa_exception_int_div_zero 0
	.end_amdhsa_kernel
	.section	.text._Z11fill_kernelIfZ21hipblaslt_init_deviceIfEv8ABC_dims24hipblaslt_initializationbPT_mmmmmEUlmE0_EvS4_mmT0_,"axG",@progbits,_Z11fill_kernelIfZ21hipblaslt_init_deviceIfEv8ABC_dims24hipblaslt_initializationbPT_mmmmmEUlmE0_EvS4_mmT0_,comdat
.Lfunc_end1:
	.size	_Z11fill_kernelIfZ21hipblaslt_init_deviceIfEv8ABC_dims24hipblaslt_initializationbPT_mmmmmEUlmE0_EvS4_mmT0_, .Lfunc_end1-_Z11fill_kernelIfZ21hipblaslt_init_deviceIfEv8ABC_dims24hipblaslt_initializationbPT_mmmmmEUlmE0_EvS4_mmT0_
                                        ; -- End function
	.set _Z11fill_kernelIfZ21hipblaslt_init_deviceIfEv8ABC_dims24hipblaslt_initializationbPT_mmmmmEUlmE0_EvS4_mmT0_.num_vgpr, 6
	.set _Z11fill_kernelIfZ21hipblaslt_init_deviceIfEv8ABC_dims24hipblaslt_initializationbPT_mmmmmEUlmE0_EvS4_mmT0_.num_agpr, 0
	.set _Z11fill_kernelIfZ21hipblaslt_init_deviceIfEv8ABC_dims24hipblaslt_initializationbPT_mmmmmEUlmE0_EvS4_mmT0_.numbered_sgpr, 10
	.set _Z11fill_kernelIfZ21hipblaslt_init_deviceIfEv8ABC_dims24hipblaslt_initializationbPT_mmmmmEUlmE0_EvS4_mmT0_.num_named_barrier, 0
	.set _Z11fill_kernelIfZ21hipblaslt_init_deviceIfEv8ABC_dims24hipblaslt_initializationbPT_mmmmmEUlmE0_EvS4_mmT0_.private_seg_size, 0
	.set _Z11fill_kernelIfZ21hipblaslt_init_deviceIfEv8ABC_dims24hipblaslt_initializationbPT_mmmmmEUlmE0_EvS4_mmT0_.uses_vcc, 0
	.set _Z11fill_kernelIfZ21hipblaslt_init_deviceIfEv8ABC_dims24hipblaslt_initializationbPT_mmmmmEUlmE0_EvS4_mmT0_.uses_flat_scratch, 0
	.set _Z11fill_kernelIfZ21hipblaslt_init_deviceIfEv8ABC_dims24hipblaslt_initializationbPT_mmmmmEUlmE0_EvS4_mmT0_.has_dyn_sized_stack, 0
	.set _Z11fill_kernelIfZ21hipblaslt_init_deviceIfEv8ABC_dims24hipblaslt_initializationbPT_mmmmmEUlmE0_EvS4_mmT0_.has_recursion, 0
	.set _Z11fill_kernelIfZ21hipblaslt_init_deviceIfEv8ABC_dims24hipblaslt_initializationbPT_mmmmmEUlmE0_EvS4_mmT0_.has_indirect_call, 0
	.section	.AMDGPU.csdata,"",@progbits
; Kernel info:
; codeLenInByte = 388
; TotalNumSgprs: 10
; NumVgprs: 6
; ScratchSize: 0
; MemoryBound: 0
; FloatMode: 240
; IeeeMode: 1
; LDSByteSize: 0 bytes/workgroup (compile time only)
; SGPRBlocks: 0
; VGPRBlocks: 0
; NumSGPRsForWavesPerEU: 10
; NumVGPRsForWavesPerEU: 6
; NamedBarCnt: 0
; Occupancy: 16
; WaveLimiterHint : 0
; COMPUTE_PGM_RSRC2:SCRATCH_EN: 0
; COMPUTE_PGM_RSRC2:USER_SGPR: 2
; COMPUTE_PGM_RSRC2:TRAP_HANDLER: 0
; COMPUTE_PGM_RSRC2:TGID_X_EN: 1
; COMPUTE_PGM_RSRC2:TGID_Y_EN: 0
; COMPUTE_PGM_RSRC2:TGID_Z_EN: 0
; COMPUTE_PGM_RSRC2:TIDIG_COMP_CNT: 0
	.section	.text._Z11fill_kernelIfZ21hipblaslt_init_deviceIfEv8ABC_dims24hipblaslt_initializationbPT_mmmmmEUlmE1_EvS4_mmT0_,"axG",@progbits,_Z11fill_kernelIfZ21hipblaslt_init_deviceIfEv8ABC_dims24hipblaslt_initializationbPT_mmmmmEUlmE1_EvS4_mmT0_,comdat
	.protected	_Z11fill_kernelIfZ21hipblaslt_init_deviceIfEv8ABC_dims24hipblaslt_initializationbPT_mmmmmEUlmE1_EvS4_mmT0_ ; -- Begin function _Z11fill_kernelIfZ21hipblaslt_init_deviceIfEv8ABC_dims24hipblaslt_initializationbPT_mmmmmEUlmE1_EvS4_mmT0_
	.globl	_Z11fill_kernelIfZ21hipblaslt_init_deviceIfEv8ABC_dims24hipblaslt_initializationbPT_mmmmmEUlmE1_EvS4_mmT0_
	.p2align	8
	.type	_Z11fill_kernelIfZ21hipblaslt_init_deviceIfEv8ABC_dims24hipblaslt_initializationbPT_mmmmmEUlmE1_EvS4_mmT0_,@function
_Z11fill_kernelIfZ21hipblaslt_init_deviceIfEv8ABC_dims24hipblaslt_initializationbPT_mmmmmEUlmE1_EvS4_mmT0_: ; @_Z11fill_kernelIfZ21hipblaslt_init_deviceIfEv8ABC_dims24hipblaslt_initializationbPT_mmmmmEUlmE1_EvS4_mmT0_
; %bb.0:
	s_clause 0x1
	s_load_b32 s2, s[0:1], 0x34
	s_load_b128 s[4:7], s[0:1], 0x0
	s_bfe_u32 s3, ttmp6, 0x4000c
	s_and_b32 s8, ttmp6, 15
	s_add_co_i32 s3, s3, 1
	s_getreg_b32 s9, hwreg(HW_REG_IB_STS2, 6, 4)
	s_mul_i32 s3, ttmp9, s3
	v_mov_b32_e32 v3, 0
	s_add_co_i32 s8, s8, s3
	s_wait_kmcnt 0x0
	s_and_b32 s2, s2, 0xffff
	s_cmp_eq_u32 s9, 0
	s_cselect_b32 s3, ttmp9, s8
	s_delay_alu instid0(SALU_CYCLE_1) | instskip(SKIP_1) | instid1(VALU_DEP_1)
	v_mad_u32 v2, s3, s2, v0
	s_mov_b32 s2, exec_lo
	v_cmpx_gt_u64_e64 s[6:7], v[2:3]
	s_cbranch_execz .LBB2_10
; %bb.1:
	s_clause 0x1
	s_load_b64 s[2:3], s[0:1], 0x10
	s_load_b128 s[8:11], s[0:1], 0x18
	s_wait_xcnt 0x0
	s_mov_b32 s0, exec_lo
	v_mov_b32_e32 v4, v3
	s_wait_kmcnt 0x0
	v_add_nc_u64_e32 v[0:1], s[2:3], v[2:3]
                                        ; implicit-def: $vgpr2_vgpr3
	s_delay_alu instid0(VALU_DEP_1) | instskip(NEXT) | instid1(VALU_DEP_1)
	v_or_b32_e32 v5, s9, v1
	v_cmpx_ne_u64_e32 0, v[4:5]
	s_xor_b32 s1, exec_lo, s0
	s_cbranch_execz .LBB2_3
; %bb.2:
	s_cvt_f32_u32 s0, s8
	s_cvt_f32_u32 s2, s9
	s_sub_nc_u64 s[6:7], 0, s[8:9]
	s_mov_b32 s15, 0
	v_dual_mov_b32 v3, 0 :: v_dual_mov_b32 v2, v0
	s_fmamk_f32 s0, s2, 0x4f800000, s0
	s_delay_alu instid0(SALU_CYCLE_3) | instskip(NEXT) | instid1(TRANS32_DEP_1)
	v_s_rcp_f32 s0, s0
	s_mul_f32 s0, s0, 0x5f7ffffc
	s_delay_alu instid0(SALU_CYCLE_3) | instskip(NEXT) | instid1(SALU_CYCLE_3)
	s_mul_f32 s2, s0, 0x2f800000
	s_trunc_f32 s2, s2
	s_delay_alu instid0(SALU_CYCLE_3) | instskip(SKIP_1) | instid1(SALU_CYCLE_2)
	s_fmamk_f32 s0, s2, 0xcf800000, s0
	s_cvt_u32_f32 s3, s2
	s_cvt_u32_f32 s2, s0
	s_delay_alu instid0(SALU_CYCLE_3) | instskip(NEXT) | instid1(SALU_CYCLE_1)
	s_mul_u64 s[12:13], s[6:7], s[2:3]
	s_mul_hi_u32 s17, s2, s13
	s_mul_i32 s16, s2, s13
	s_mul_hi_u32 s14, s2, s12
	s_mul_i32 s18, s3, s12
	s_add_nc_u64 s[16:17], s[14:15], s[16:17]
	s_mul_hi_u32 s0, s3, s12
	s_mul_hi_u32 s19, s3, s13
	s_mul_i32 s12, s3, s13
	s_add_co_u32 s13, s16, s18
	s_add_co_ci_u32 s14, s17, s0
	s_add_co_ci_u32 s13, s19, 0
	s_delay_alu instid0(SALU_CYCLE_1) | instskip(NEXT) | instid1(SALU_CYCLE_1)
	s_add_nc_u64 s[12:13], s[14:15], s[12:13]
	s_add_co_u32 s2, s2, s12
	s_cselect_b32 s0, -1, 0
	s_delay_alu instid0(SALU_CYCLE_1) | instskip(SKIP_1) | instid1(SALU_CYCLE_1)
	s_cmp_lg_u32 s0, 0
	s_add_co_ci_u32 s3, s3, s13
	s_mul_u64 s[6:7], s[6:7], s[2:3]
	s_delay_alu instid0(SALU_CYCLE_1)
	s_mul_hi_u32 s13, s2, s7
	s_mul_i32 s12, s2, s7
	s_mul_hi_u32 s14, s2, s6
	s_mul_i32 s16, s3, s6
	s_add_nc_u64 s[12:13], s[14:15], s[12:13]
	s_mul_hi_u32 s0, s3, s6
	s_mul_hi_u32 s17, s3, s7
	s_mul_i32 s6, s3, s7
	s_add_co_u32 s7, s12, s16
	s_add_co_ci_u32 s14, s13, s0
	s_add_co_ci_u32 s7, s17, 0
	s_delay_alu instid0(SALU_CYCLE_1) | instskip(NEXT) | instid1(SALU_CYCLE_1)
	s_add_nc_u64 s[6:7], s[14:15], s[6:7]
	s_add_co_u32 s0, s2, s6
	s_cselect_b32 s2, -1, 0
	s_delay_alu instid0(SALU_CYCLE_1)
	s_cmp_lg_u32 s2, 0
	s_add_co_ci_u32 s14, s3, s7
	s_mov_b64 s[2:3], 0xffffffff
	v_mul_u64_e32 v[4:5], s[14:15], v[2:3]
	v_mul_hi_u32 v2, v0, s0
	s_and_b64 s[2:3], s[0:1], s[2:3]
	s_delay_alu instid0(VALU_DEP_1) | instskip(SKIP_1) | instid1(VALU_DEP_1)
	v_add_nc_u64_e32 v[4:5], v[2:3], v[4:5]
	v_mov_b32_e32 v2, v1
	v_mul_u64_e32 v[6:7], s[2:3], v[2:3]
	v_mul_u64_e32 v[8:9], s[14:15], v[2:3]
	s_delay_alu instid0(VALU_DEP_2) | instskip(NEXT) | instid1(VALU_DEP_3)
	v_add_co_u32 v2, vcc_lo, v4, v6
	v_add_co_ci_u32_e32 v2, vcc_lo, v5, v7, vcc_lo
	s_delay_alu instid0(VALU_DEP_3) | instskip(NEXT) | instid1(VALU_DEP_1)
	v_add_co_ci_u32_e32 v9, vcc_lo, 0, v9, vcc_lo
	v_add_nc_u64_e32 v[2:3], v[2:3], v[8:9]
	s_delay_alu instid0(VALU_DEP_1) | instskip(NEXT) | instid1(VALU_DEP_1)
	v_mul_u64_e32 v[2:3], s[8:9], v[2:3]
	v_sub_nc_u32_e32 v4, v1, v3
	s_delay_alu instid0(VALU_DEP_2) | instskip(NEXT) | instid1(VALU_DEP_1)
	v_sub_co_u32 v2, vcc_lo, v0, v2
	v_sub_co_ci_u32_e64 v3, null, v1, v3, vcc_lo
	s_delay_alu instid0(VALU_DEP_3) | instskip(NEXT) | instid1(VALU_DEP_3)
	v_subrev_co_ci_u32_e64 v4, null, s9, v4, vcc_lo
	v_sub_co_u32 v5, vcc_lo, v2, s8
	v_cmp_le_u32_e64 s0, s8, v2
	s_delay_alu instid0(VALU_DEP_3) | instskip(SKIP_1) | instid1(VALU_DEP_3)
	v_subrev_co_ci_u32_e64 v6, null, 0, v4, vcc_lo
	v_subrev_co_ci_u32_e64 v4, null, s9, v4, vcc_lo
	v_cndmask_b32_e64 v7, 0, -1, s0
	v_cmp_le_u32_e64 s0, s8, v5
	v_cmp_le_u32_e32 vcc_lo, s9, v3
	s_delay_alu instid0(VALU_DEP_2) | instskip(SKIP_3) | instid1(VALU_DEP_3)
	v_cndmask_b32_e64 v8, 0, -1, s0
	v_cmp_le_u32_e64 s0, s9, v6
	v_cndmask_b32_e64 v10, 0, -1, vcc_lo
	v_cmp_eq_u32_e32 vcc_lo, s9, v6
	v_cndmask_b32_e64 v9, 0, -1, s0
	v_cmp_eq_u32_e64 s0, s9, v3
	s_delay_alu instid0(VALU_DEP_1) | instskip(SKIP_1) | instid1(VALU_DEP_1)
	v_dual_cndmask_b32 v8, v9, v8, vcc_lo :: v_dual_cndmask_b32 v7, v10, v7, s0
	v_sub_co_u32 v9, vcc_lo, v5, s8
	v_subrev_co_ci_u32_e64 v4, null, 0, v4, vcc_lo
	s_delay_alu instid0(VALU_DEP_3) | instskip(NEXT) | instid1(VALU_DEP_2)
	v_cmp_ne_u32_e32 vcc_lo, 0, v8
	v_dual_cndmask_b32 v4, v6, v4 :: v_dual_cndmask_b32 v5, v5, v9
	v_cmp_ne_u32_e32 vcc_lo, 0, v7
	s_delay_alu instid0(VALU_DEP_2)
	v_dual_cndmask_b32 v3, v3, v4 :: v_dual_cndmask_b32 v2, v2, v5
.LBB2_3:
	s_and_not1_saveexec_b32 s0, s1
	s_cbranch_execz .LBB2_5
; %bb.4:
	v_cvt_f32_u32_e32 v2, s8
	s_sub_co_i32 s1, 0, s8
	s_delay_alu instid0(VALU_DEP_1) | instskip(SKIP_1) | instid1(TRANS32_DEP_1)
	v_rcp_iflag_f32_e32 v2, v2
	v_nop
	v_mul_f32_e32 v2, 0x4f7ffffe, v2
	s_delay_alu instid0(VALU_DEP_1) | instskip(NEXT) | instid1(VALU_DEP_1)
	v_cvt_u32_f32_e32 v2, v2
	v_mul_lo_u32 v3, s1, v2
	s_delay_alu instid0(VALU_DEP_1) | instskip(NEXT) | instid1(VALU_DEP_1)
	v_mul_hi_u32 v3, v2, v3
	v_add_nc_u32_e32 v2, v2, v3
	s_delay_alu instid0(VALU_DEP_1) | instskip(NEXT) | instid1(VALU_DEP_1)
	v_mul_hi_u32 v2, v0, v2
	v_mul_lo_u32 v2, v2, s8
	s_delay_alu instid0(VALU_DEP_1) | instskip(NEXT) | instid1(VALU_DEP_1)
	v_sub_nc_u32_e32 v2, v0, v2
	v_subrev_nc_u32_e32 v3, s8, v2
	v_cmp_le_u32_e32 vcc_lo, s8, v2
	s_delay_alu instid0(VALU_DEP_2) | instskip(NEXT) | instid1(VALU_DEP_1)
	v_cndmask_b32_e32 v2, v2, v3, vcc_lo
	v_subrev_nc_u32_e32 v3, s8, v2
	v_cmp_le_u32_e32 vcc_lo, s8, v2
	s_delay_alu instid0(VALU_DEP_2)
	v_dual_cndmask_b32 v2, v2, v3 :: v_dual_mov_b32 v3, 0
.LBB2_5:
	s_or_b32 exec_lo, exec_lo, s0
	s_delay_alu instid0(VALU_DEP_1) | instskip(SKIP_1) | instid1(VALU_DEP_1)
	v_dual_mov_b32 v4, 0 :: v_dual_bitop2_b32 v5, s11, v3 bitop3:0x54
                                        ; implicit-def: $vgpr6_vgpr7
	s_mov_b32 s0, exec_lo
	v_cmpx_ne_u64_e32 0, v[4:5]
	s_xor_b32 s1, exec_lo, s0
	s_cbranch_execz .LBB2_7
; %bb.6:
	s_cvt_f32_u32 s0, s10
	s_cvt_f32_u32 s2, s11
	s_sub_nc_u64 s[6:7], 0, s[10:11]
	s_mov_b32 s13, 0
	v_dual_mov_b32 v6, v2 :: v_dual_mov_b32 v7, v4
	s_fmamk_f32 s0, s2, 0x4f800000, s0
	v_dual_mov_b32 v8, v3 :: v_dual_mov_b32 v9, v4
	v_dual_mov_b32 v13, v4 :: v_dual_mov_b32 v5, v4
	s_delay_alu instid0(SALU_CYCLE_1) | instskip(NEXT) | instid1(TRANS32_DEP_1)
	v_s_rcp_f32 s0, s0
	s_mul_f32 s0, s0, 0x5f7ffffc
	s_delay_alu instid0(SALU_CYCLE_3) | instskip(NEXT) | instid1(SALU_CYCLE_3)
	s_mul_f32 s2, s0, 0x2f800000
	s_trunc_f32 s2, s2
	s_delay_alu instid0(SALU_CYCLE_3) | instskip(SKIP_1) | instid1(SALU_CYCLE_2)
	s_fmamk_f32 s0, s2, 0xcf800000, s0
	s_cvt_u32_f32 s3, s2
	s_cvt_u32_f32 s2, s0
	s_delay_alu instid0(SALU_CYCLE_3) | instskip(NEXT) | instid1(SALU_CYCLE_1)
	s_mul_u64 s[8:9], s[6:7], s[2:3]
	s_mul_hi_u32 s15, s2, s9
	s_mul_i32 s14, s2, s9
	s_mul_hi_u32 s12, s2, s8
	s_mul_i32 s16, s3, s8
	s_add_nc_u64 s[14:15], s[12:13], s[14:15]
	s_mul_hi_u32 s0, s3, s8
	s_mul_hi_u32 s17, s3, s9
	s_mul_i32 s8, s3, s9
	s_add_co_u32 s9, s14, s16
	s_add_co_ci_u32 s12, s15, s0
	s_add_co_ci_u32 s9, s17, 0
	s_delay_alu instid0(SALU_CYCLE_1) | instskip(NEXT) | instid1(SALU_CYCLE_1)
	s_add_nc_u64 s[8:9], s[12:13], s[8:9]
	s_add_co_u32 s2, s2, s8
	s_cselect_b32 s0, -1, 0
	s_delay_alu instid0(SALU_CYCLE_1) | instskip(SKIP_1) | instid1(SALU_CYCLE_1)
	s_cmp_lg_u32 s0, 0
	s_add_co_ci_u32 s3, s3, s9
	s_mul_u64 s[6:7], s[6:7], s[2:3]
	s_delay_alu instid0(SALU_CYCLE_1)
	s_mul_hi_u32 s9, s2, s7
	s_mul_i32 s8, s2, s7
	s_mul_hi_u32 s12, s2, s6
	s_mul_i32 s14, s3, s6
	s_add_nc_u64 s[8:9], s[12:13], s[8:9]
	s_mul_hi_u32 s0, s3, s6
	s_mul_hi_u32 s15, s3, s7
	s_mul_i32 s6, s3, s7
	s_add_co_u32 s7, s8, s14
	s_add_co_ci_u32 s12, s9, s0
	s_add_co_ci_u32 s7, s15, 0
	s_delay_alu instid0(SALU_CYCLE_1) | instskip(NEXT) | instid1(SALU_CYCLE_1)
	s_add_nc_u64 s[6:7], s[12:13], s[6:7]
	s_add_co_u32 s0, s2, s6
	s_cselect_b32 s2, -1, 0
	v_nop
	v_mul_hi_u32 v12, v2, s0
	s_cmp_lg_u32 s2, 0
	s_add_co_ci_u32 s12, s3, s7
	s_mov_b64 s[2:3], 0xffffffff
	v_mul_u64_e32 v[6:7], s[12:13], v[6:7]
	s_and_b64 s[2:3], s[0:1], s[2:3]
	s_delay_alu instid0(SALU_CYCLE_1) | instskip(SKIP_1) | instid1(VALU_DEP_3)
	v_mul_u64_e32 v[10:11], s[2:3], v[8:9]
	v_mul_u64_e32 v[8:9], s[12:13], v[8:9]
	v_add_nc_u64_e32 v[6:7], v[12:13], v[6:7]
	s_delay_alu instid0(VALU_DEP_1) | instskip(NEXT) | instid1(VALU_DEP_2)
	v_add_co_u32 v4, vcc_lo, v6, v10
	v_add_co_ci_u32_e32 v4, vcc_lo, v7, v11, vcc_lo
	s_delay_alu instid0(VALU_DEP_4) | instskip(NEXT) | instid1(VALU_DEP_1)
	v_add_co_ci_u32_e32 v9, vcc_lo, 0, v9, vcc_lo
	v_add_nc_u64_e32 v[4:5], v[4:5], v[8:9]
	s_delay_alu instid0(VALU_DEP_1) | instskip(SKIP_1) | instid1(VALU_DEP_2)
	v_mul_u64_e32 v[6:7], s[10:11], v[4:5]
	v_add_nc_u64_e32 v[8:9], 2, v[4:5]
	v_sub_nc_u32_e32 v10, v3, v7
	s_delay_alu instid0(VALU_DEP_3) | instskip(NEXT) | instid1(VALU_DEP_1)
	v_sub_co_u32 v6, vcc_lo, v2, v6
	v_sub_co_ci_u32_e64 v3, null, v3, v7, vcc_lo
	s_delay_alu instid0(VALU_DEP_3) | instskip(SKIP_1) | instid1(VALU_DEP_4)
	v_subrev_co_ci_u32_e64 v9, null, s11, v10, vcc_lo
	v_add_nc_u64_e32 v[10:11], 1, v[4:5]
	v_sub_co_u32 v5, s0, v6, s10
	s_delay_alu instid0(VALU_DEP_1) | instskip(NEXT) | instid1(VALU_DEP_2)
	v_subrev_co_ci_u32_e64 v9, null, 0, v9, s0
	v_cmp_le_u32_e32 vcc_lo, s10, v5
	v_cndmask_b32_e64 v5, 0, -1, vcc_lo
	s_delay_alu instid0(VALU_DEP_3)
	v_cmp_le_u32_e32 vcc_lo, s11, v9
	v_cndmask_b32_e64 v7, 0, -1, vcc_lo
	v_cmp_le_u32_e32 vcc_lo, s10, v6
	v_cndmask_b32_e64 v6, 0, -1, vcc_lo
	;; [unrolled: 2-line block ×3, first 2 shown]
	v_cmp_eq_u32_e32 vcc_lo, s11, v9
	v_cndmask_b32_e32 v5, v7, v5, vcc_lo
	v_cmp_eq_u32_e32 vcc_lo, s11, v3
	s_delay_alu instid0(VALU_DEP_4) | instskip(NEXT) | instid1(VALU_DEP_3)
	v_cndmask_b32_e32 v3, v11, v6, vcc_lo
	v_cmp_ne_u32_e32 vcc_lo, 0, v5
	v_cndmask_b32_e32 v5, v10, v8, vcc_lo
	s_delay_alu instid0(VALU_DEP_3) | instskip(NEXT) | instid1(VALU_DEP_2)
	v_cmp_ne_u32_e32 vcc_lo, 0, v3
	v_cndmask_b32_e32 v6, v4, v5, vcc_lo
.LBB2_7:
	s_and_not1_saveexec_b32 s0, s1
	s_cbranch_execz .LBB2_9
; %bb.8:
	v_cvt_f32_u32_e32 v3, s10
	s_sub_co_i32 s1, 0, s10
	s_delay_alu instid0(VALU_DEP_1) | instskip(SKIP_1) | instid1(TRANS32_DEP_1)
	v_rcp_iflag_f32_e32 v3, v3
	v_nop
	v_mul_f32_e32 v3, 0x4f7ffffe, v3
	s_delay_alu instid0(VALU_DEP_1) | instskip(NEXT) | instid1(VALU_DEP_1)
	v_cvt_u32_f32_e32 v3, v3
	v_mul_lo_u32 v4, s1, v3
	s_delay_alu instid0(VALU_DEP_1) | instskip(NEXT) | instid1(VALU_DEP_1)
	v_mul_hi_u32 v4, v3, v4
	v_add_nc_u32_e32 v3, v3, v4
	s_delay_alu instid0(VALU_DEP_1) | instskip(NEXT) | instid1(VALU_DEP_1)
	v_mul_hi_u32 v3, v2, v3
	v_mul_lo_u32 v4, v3, s10
	s_delay_alu instid0(VALU_DEP_1) | instskip(NEXT) | instid1(VALU_DEP_1)
	v_dual_add_nc_u32 v5, 1, v3 :: v_dual_sub_nc_u32 v4, v2, v4
	v_subrev_nc_u32_e32 v6, s10, v4
	v_cmp_le_u32_e32 vcc_lo, s10, v4
	s_delay_alu instid0(VALU_DEP_2) | instskip(NEXT) | instid1(VALU_DEP_1)
	v_dual_cndmask_b32 v4, v4, v6 :: v_dual_cndmask_b32 v3, v3, v5
	v_cmp_le_u32_e32 vcc_lo, s10, v4
	s_delay_alu instid0(VALU_DEP_2) | instskip(NEXT) | instid1(VALU_DEP_1)
	v_add_nc_u32_e32 v5, 1, v3
	v_cndmask_b32_e32 v6, v3, v5, vcc_lo
.LBB2_9:
	s_or_b32 exec_lo, exec_lo, s0
	s_mov_b32 s0, 0x19660d
	s_delay_alu instid0(SALU_CYCLE_1) | instskip(NEXT) | instid1(VALU_DEP_1)
	v_mad_nc_u64_u32 v[4:5], v0, s0, 0x3c6ef35f
	v_mad_u32 v5, 0x19660d, v1, v5
	v_lshl_add_u64 v[0:1], v[0:1], 2, s[4:5]
	s_delay_alu instid0(VALU_DEP_2) | instskip(NEXT) | instid1(VALU_DEP_1)
	v_lshlrev_b64_e32 v[8:9], 13, v[4:5]
	v_xor_b32_e32 v5, v9, v5
	s_delay_alu instid0(VALU_DEP_2) | instskip(NEXT) | instid1(VALU_DEP_1)
	v_xor_b32_e32 v4, v8, v4
	v_lshrrev_b64 v[8:9], 17, v[4:5]
	s_delay_alu instid0(VALU_DEP_1) | instskip(NEXT) | instid1(VALU_DEP_2)
	v_xor_b32_e32 v5, v9, v5
	v_xor_b32_e32 v4, v8, v4
	s_delay_alu instid0(VALU_DEP_1) | instskip(NEXT) | instid1(VALU_DEP_1)
	v_lshlrev_b64_e32 v[8:9], 5, v[4:5]
	v_xor_b32_e32 v5, v9, v5
	s_delay_alu instid0(VALU_DEP_2) | instskip(NEXT) | instid1(VALU_DEP_1)
	v_xor_b32_e32 v4, v8, v4
	v_lshlrev_b64_e32 v[8:9], 13, v[4:5]
	s_delay_alu instid0(VALU_DEP_1) | instskip(NEXT) | instid1(VALU_DEP_2)
	v_xor_b32_e32 v5, v9, v5
	v_xor_b32_e32 v4, v8, v4
	s_delay_alu instid0(VALU_DEP_1) | instskip(NEXT) | instid1(VALU_DEP_1)
	v_lshrrev_b64 v[8:9], 17, v[4:5]
	v_xor_b32_e32 v5, v9, v5
	s_delay_alu instid0(VALU_DEP_2) | instskip(NEXT) | instid1(VALU_DEP_1)
	v_xor_b32_e32 v4, v8, v4
	v_lshlrev_b64_e32 v[8:9], 5, v[4:5]
	s_delay_alu instid0(VALU_DEP_1) | instskip(NEXT) | instid1(VALU_DEP_2)
	v_xor_b32_e32 v5, v9, v5
	v_xor_b32_e32 v4, v8, v4
	s_delay_alu instid0(VALU_DEP_1) | instskip(NEXT) | instid1(VALU_DEP_1)
	v_lshlrev_b64_e32 v[8:9], 13, v[4:5]
	v_xor_b32_e32 v3, v9, v5
	s_delay_alu instid0(VALU_DEP_2) | instskip(SKIP_1) | instid1(VALU_DEP_2)
	v_xor_b32_e32 v4, v8, v4
	v_mul_lo_u32 v5, v6, s10
	v_alignbit_b32 v3, v3, v4, 17
	s_delay_alu instid0(VALU_DEP_1) | instskip(NEXT) | instid1(VALU_DEP_1)
	v_dual_sub_nc_u32 v2, v2, v5 :: v_dual_bitop2_b32 v3, v3, v4 bitop3:0x14
	v_lshlrev_b32_e32 v4, 5, v3
	s_delay_alu instid0(VALU_DEP_2) | instskip(NEXT) | instid1(VALU_DEP_2)
	v_bitop3_b32 v2, v2, 1, v6 bitop3:0x48
	v_xor_b32_e32 v3, v4, v3
	s_delay_alu instid0(VALU_DEP_2) | instskip(NEXT) | instid1(VALU_DEP_2)
	v_cmp_eq_u32_e32 vcc_lo, 0, v2
	v_mul_hi_u32 v4, 0xcccccccd, v3
	s_delay_alu instid0(VALU_DEP_1) | instskip(NEXT) | instid1(VALU_DEP_1)
	v_lshrrev_b32_e32 v4, 3, v4
	v_mul_lo_u32 v4, v4, 10
	s_delay_alu instid0(VALU_DEP_1) | instskip(NEXT) | instid1(VALU_DEP_1)
	v_sub_nc_u32_e32 v3, v3, v4
	v_add_nc_u32_e32 v3, 1, v3
	s_delay_alu instid0(VALU_DEP_1) | instskip(NEXT) | instid1(VALU_DEP_1)
	v_cvt_f32_u32_e32 v3, v3
	v_cndmask_b32_e64 v2, v3, -v3, vcc_lo
	global_store_b32 v[0:1], v2, off
.LBB2_10:
	s_endpgm
	.section	.rodata,"a",@progbits
	.p2align	6, 0x0
	.amdhsa_kernel _Z11fill_kernelIfZ21hipblaslt_init_deviceIfEv8ABC_dims24hipblaslt_initializationbPT_mmmmmEUlmE1_EvS4_mmT0_
		.amdhsa_group_segment_fixed_size 0
		.amdhsa_private_segment_fixed_size 0
		.amdhsa_kernarg_size 296
		.amdhsa_user_sgpr_count 2
		.amdhsa_user_sgpr_dispatch_ptr 0
		.amdhsa_user_sgpr_queue_ptr 0
		.amdhsa_user_sgpr_kernarg_segment_ptr 1
		.amdhsa_user_sgpr_dispatch_id 0
		.amdhsa_user_sgpr_kernarg_preload_length 0
		.amdhsa_user_sgpr_kernarg_preload_offset 0
		.amdhsa_user_sgpr_private_segment_size 0
		.amdhsa_wavefront_size32 1
		.amdhsa_uses_dynamic_stack 0
		.amdhsa_enable_private_segment 0
		.amdhsa_system_sgpr_workgroup_id_x 1
		.amdhsa_system_sgpr_workgroup_id_y 0
		.amdhsa_system_sgpr_workgroup_id_z 0
		.amdhsa_system_sgpr_workgroup_info 0
		.amdhsa_system_vgpr_workitem_id 0
		.amdhsa_next_free_vgpr 14
		.amdhsa_next_free_sgpr 20
		.amdhsa_named_barrier_count 0
		.amdhsa_reserve_vcc 1
		.amdhsa_float_round_mode_32 0
		.amdhsa_float_round_mode_16_64 0
		.amdhsa_float_denorm_mode_32 3
		.amdhsa_float_denorm_mode_16_64 3
		.amdhsa_fp16_overflow 0
		.amdhsa_memory_ordered 1
		.amdhsa_forward_progress 1
		.amdhsa_inst_pref_size 15
		.amdhsa_round_robin_scheduling 0
		.amdhsa_exception_fp_ieee_invalid_op 0
		.amdhsa_exception_fp_denorm_src 0
		.amdhsa_exception_fp_ieee_div_zero 0
		.amdhsa_exception_fp_ieee_overflow 0
		.amdhsa_exception_fp_ieee_underflow 0
		.amdhsa_exception_fp_ieee_inexact 0
		.amdhsa_exception_int_div_zero 0
	.end_amdhsa_kernel
	.section	.text._Z11fill_kernelIfZ21hipblaslt_init_deviceIfEv8ABC_dims24hipblaslt_initializationbPT_mmmmmEUlmE1_EvS4_mmT0_,"axG",@progbits,_Z11fill_kernelIfZ21hipblaslt_init_deviceIfEv8ABC_dims24hipblaslt_initializationbPT_mmmmmEUlmE1_EvS4_mmT0_,comdat
.Lfunc_end2:
	.size	_Z11fill_kernelIfZ21hipblaslt_init_deviceIfEv8ABC_dims24hipblaslt_initializationbPT_mmmmmEUlmE1_EvS4_mmT0_, .Lfunc_end2-_Z11fill_kernelIfZ21hipblaslt_init_deviceIfEv8ABC_dims24hipblaslt_initializationbPT_mmmmmEUlmE1_EvS4_mmT0_
                                        ; -- End function
	.set _Z11fill_kernelIfZ21hipblaslt_init_deviceIfEv8ABC_dims24hipblaslt_initializationbPT_mmmmmEUlmE1_EvS4_mmT0_.num_vgpr, 14
	.set _Z11fill_kernelIfZ21hipblaslt_init_deviceIfEv8ABC_dims24hipblaslt_initializationbPT_mmmmmEUlmE1_EvS4_mmT0_.num_agpr, 0
	.set _Z11fill_kernelIfZ21hipblaslt_init_deviceIfEv8ABC_dims24hipblaslt_initializationbPT_mmmmmEUlmE1_EvS4_mmT0_.numbered_sgpr, 20
	.set _Z11fill_kernelIfZ21hipblaslt_init_deviceIfEv8ABC_dims24hipblaslt_initializationbPT_mmmmmEUlmE1_EvS4_mmT0_.num_named_barrier, 0
	.set _Z11fill_kernelIfZ21hipblaslt_init_deviceIfEv8ABC_dims24hipblaslt_initializationbPT_mmmmmEUlmE1_EvS4_mmT0_.private_seg_size, 0
	.set _Z11fill_kernelIfZ21hipblaslt_init_deviceIfEv8ABC_dims24hipblaslt_initializationbPT_mmmmmEUlmE1_EvS4_mmT0_.uses_vcc, 1
	.set _Z11fill_kernelIfZ21hipblaslt_init_deviceIfEv8ABC_dims24hipblaslt_initializationbPT_mmmmmEUlmE1_EvS4_mmT0_.uses_flat_scratch, 0
	.set _Z11fill_kernelIfZ21hipblaslt_init_deviceIfEv8ABC_dims24hipblaslt_initializationbPT_mmmmmEUlmE1_EvS4_mmT0_.has_dyn_sized_stack, 0
	.set _Z11fill_kernelIfZ21hipblaslt_init_deviceIfEv8ABC_dims24hipblaslt_initializationbPT_mmmmmEUlmE1_EvS4_mmT0_.has_recursion, 0
	.set _Z11fill_kernelIfZ21hipblaslt_init_deviceIfEv8ABC_dims24hipblaslt_initializationbPT_mmmmmEUlmE1_EvS4_mmT0_.has_indirect_call, 0
	.section	.AMDGPU.csdata,"",@progbits
; Kernel info:
; codeLenInByte = 1816
; TotalNumSgprs: 22
; NumVgprs: 14
; ScratchSize: 0
; MemoryBound: 0
; FloatMode: 240
; IeeeMode: 1
; LDSByteSize: 0 bytes/workgroup (compile time only)
; SGPRBlocks: 0
; VGPRBlocks: 0
; NumSGPRsForWavesPerEU: 22
; NumVGPRsForWavesPerEU: 14
; NamedBarCnt: 0
; Occupancy: 16
; WaveLimiterHint : 0
; COMPUTE_PGM_RSRC2:SCRATCH_EN: 0
; COMPUTE_PGM_RSRC2:USER_SGPR: 2
; COMPUTE_PGM_RSRC2:TRAP_HANDLER: 0
; COMPUTE_PGM_RSRC2:TGID_X_EN: 1
; COMPUTE_PGM_RSRC2:TGID_Y_EN: 0
; COMPUTE_PGM_RSRC2:TGID_Z_EN: 0
; COMPUTE_PGM_RSRC2:TIDIG_COMP_CNT: 0
	.section	.text._Z11fill_kernelIfZ21hipblaslt_init_deviceIfEv8ABC_dims24hipblaslt_initializationbPT_mmmmmEUlmE2_EvS4_mmT0_,"axG",@progbits,_Z11fill_kernelIfZ21hipblaslt_init_deviceIfEv8ABC_dims24hipblaslt_initializationbPT_mmmmmEUlmE2_EvS4_mmT0_,comdat
	.protected	_Z11fill_kernelIfZ21hipblaslt_init_deviceIfEv8ABC_dims24hipblaslt_initializationbPT_mmmmmEUlmE2_EvS4_mmT0_ ; -- Begin function _Z11fill_kernelIfZ21hipblaslt_init_deviceIfEv8ABC_dims24hipblaslt_initializationbPT_mmmmmEUlmE2_EvS4_mmT0_
	.globl	_Z11fill_kernelIfZ21hipblaslt_init_deviceIfEv8ABC_dims24hipblaslt_initializationbPT_mmmmmEUlmE2_EvS4_mmT0_
	.p2align	8
	.type	_Z11fill_kernelIfZ21hipblaslt_init_deviceIfEv8ABC_dims24hipblaslt_initializationbPT_mmmmmEUlmE2_EvS4_mmT0_,@function
_Z11fill_kernelIfZ21hipblaslt_init_deviceIfEv8ABC_dims24hipblaslt_initializationbPT_mmmmmEUlmE2_EvS4_mmT0_: ; @_Z11fill_kernelIfZ21hipblaslt_init_deviceIfEv8ABC_dims24hipblaslt_initializationbPT_mmmmmEUlmE2_EvS4_mmT0_
; %bb.0:
	s_clause 0x1
	s_load_b32 s2, s[0:1], 0x44
	s_load_b128 s[12:15], s[0:1], 0x0
	s_bfe_u32 s3, ttmp6, 0x4000c
	s_and_b32 s4, ttmp6, 15
	s_add_co_i32 s3, s3, 1
	s_getreg_b32 s5, hwreg(HW_REG_IB_STS2, 6, 4)
	s_mul_i32 s3, ttmp9, s3
	v_mov_b32_e32 v3, 0
	s_add_co_i32 s4, s4, s3
	s_wait_kmcnt 0x0
	s_and_b32 s2, s2, 0xffff
	s_cmp_eq_u32 s5, 0
	s_cselect_b32 s3, ttmp9, s4
	s_delay_alu instid0(SALU_CYCLE_1) | instskip(SKIP_1) | instid1(VALU_DEP_1)
	v_mad_u32 v2, s3, s2, v0
	s_mov_b32 s2, exec_lo
	v_cmpx_gt_u64_e64 s[14:15], v[2:3]
	s_cbranch_execz .LBB3_14
; %bb.1:
	s_clause 0x1
	s_load_b64 s[2:3], s[0:1], 0x10
	s_load_b256 s[4:11], s[0:1], 0x18
	s_wait_xcnt 0x0
	s_mov_b32 s0, exec_lo
	v_mov_b32_e32 v4, v3
	s_wait_kmcnt 0x0
	v_add_nc_u64_e32 v[0:1], s[2:3], v[2:3]
                                        ; implicit-def: $vgpr2_vgpr3
	s_delay_alu instid0(VALU_DEP_1) | instskip(NEXT) | instid1(VALU_DEP_1)
	v_or_b32_e32 v5, s9, v1
	v_cmpx_ne_u64_e32 0, v[4:5]
	s_xor_b32 s1, exec_lo, s0
	s_cbranch_execz .LBB3_3
; %bb.2:
	s_cvt_f32_u32 s0, s8
	s_cvt_f32_u32 s2, s9
	s_sub_nc_u64 s[14:15], 0, s[8:9]
	s_mov_b32 s19, 0
	v_dual_mov_b32 v3, 0 :: v_dual_mov_b32 v2, v0
	s_fmamk_f32 s0, s2, 0x4f800000, s0
	s_delay_alu instid0(SALU_CYCLE_3) | instskip(NEXT) | instid1(TRANS32_DEP_1)
	v_s_rcp_f32 s0, s0
	s_mul_f32 s0, s0, 0x5f7ffffc
	s_delay_alu instid0(SALU_CYCLE_3) | instskip(NEXT) | instid1(SALU_CYCLE_3)
	s_mul_f32 s2, s0, 0x2f800000
	s_trunc_f32 s2, s2
	s_delay_alu instid0(SALU_CYCLE_3) | instskip(SKIP_1) | instid1(SALU_CYCLE_2)
	s_fmamk_f32 s0, s2, 0xcf800000, s0
	s_cvt_u32_f32 s3, s2
	s_cvt_u32_f32 s2, s0
	s_delay_alu instid0(SALU_CYCLE_3) | instskip(NEXT) | instid1(SALU_CYCLE_1)
	s_mul_u64 s[16:17], s[14:15], s[2:3]
	s_mul_hi_u32 s21, s2, s17
	s_mul_i32 s20, s2, s17
	s_mul_hi_u32 s18, s2, s16
	s_mul_i32 s22, s3, s16
	s_add_nc_u64 s[20:21], s[18:19], s[20:21]
	s_mul_hi_u32 s0, s3, s16
	s_mul_hi_u32 s23, s3, s17
	s_mul_i32 s16, s3, s17
	s_add_co_u32 s17, s20, s22
	s_add_co_ci_u32 s18, s21, s0
	s_add_co_ci_u32 s17, s23, 0
	s_delay_alu instid0(SALU_CYCLE_1) | instskip(NEXT) | instid1(SALU_CYCLE_1)
	s_add_nc_u64 s[16:17], s[18:19], s[16:17]
	s_add_co_u32 s2, s2, s16
	s_cselect_b32 s0, -1, 0
	s_delay_alu instid0(SALU_CYCLE_1) | instskip(SKIP_1) | instid1(SALU_CYCLE_1)
	s_cmp_lg_u32 s0, 0
	s_add_co_ci_u32 s3, s3, s17
	s_mul_u64 s[14:15], s[14:15], s[2:3]
	s_delay_alu instid0(SALU_CYCLE_1)
	s_mul_hi_u32 s17, s2, s15
	s_mul_i32 s16, s2, s15
	s_mul_hi_u32 s18, s2, s14
	s_mul_i32 s20, s3, s14
	s_add_nc_u64 s[16:17], s[18:19], s[16:17]
	s_mul_hi_u32 s0, s3, s14
	s_mul_hi_u32 s21, s3, s15
	s_mul_i32 s14, s3, s15
	s_add_co_u32 s15, s16, s20
	s_add_co_ci_u32 s18, s17, s0
	s_add_co_ci_u32 s15, s21, 0
	s_delay_alu instid0(SALU_CYCLE_1) | instskip(NEXT) | instid1(SALU_CYCLE_1)
	s_add_nc_u64 s[14:15], s[18:19], s[14:15]
	s_add_co_u32 s0, s2, s14
	s_cselect_b32 s2, -1, 0
	s_delay_alu instid0(SALU_CYCLE_1)
	s_cmp_lg_u32 s2, 0
	s_add_co_ci_u32 s18, s3, s15
	s_mov_b64 s[2:3], 0xffffffff
	v_mul_u64_e32 v[4:5], s[18:19], v[2:3]
	v_mul_hi_u32 v2, v0, s0
	s_and_b64 s[2:3], s[0:1], s[2:3]
	s_delay_alu instid0(VALU_DEP_1) | instskip(SKIP_1) | instid1(VALU_DEP_1)
	v_add_nc_u64_e32 v[4:5], v[2:3], v[4:5]
	v_mov_b32_e32 v2, v1
	v_mul_u64_e32 v[6:7], s[2:3], v[2:3]
	v_mul_u64_e32 v[8:9], s[18:19], v[2:3]
	s_delay_alu instid0(VALU_DEP_2) | instskip(NEXT) | instid1(VALU_DEP_3)
	v_add_co_u32 v2, vcc_lo, v4, v6
	v_add_co_ci_u32_e32 v2, vcc_lo, v5, v7, vcc_lo
	s_delay_alu instid0(VALU_DEP_3) | instskip(NEXT) | instid1(VALU_DEP_1)
	v_add_co_ci_u32_e32 v9, vcc_lo, 0, v9, vcc_lo
	v_add_nc_u64_e32 v[2:3], v[2:3], v[8:9]
	s_delay_alu instid0(VALU_DEP_1) | instskip(NEXT) | instid1(VALU_DEP_1)
	v_mul_u64_e32 v[4:5], s[8:9], v[2:3]
	v_sub_nc_u32_e32 v6, v1, v5
	s_delay_alu instid0(VALU_DEP_2) | instskip(NEXT) | instid1(VALU_DEP_1)
	v_sub_co_u32 v4, vcc_lo, v0, v4
	v_sub_co_ci_u32_e64 v11, null, v1, v5, vcc_lo
	s_delay_alu instid0(VALU_DEP_3) | instskip(NEXT) | instid1(VALU_DEP_3)
	v_subrev_co_ci_u32_e64 v6, null, s9, v6, vcc_lo
	v_sub_co_u32 v8, s0, v4, s8
	v_cmp_le_u32_e32 vcc_lo, s8, v4
	s_delay_alu instid0(VALU_DEP_3) | instskip(NEXT) | instid1(VALU_DEP_3)
	v_subrev_co_ci_u32_e64 v9, null, 0, v6, s0
	v_cmp_le_u32_e64 s0, s8, v8
	v_add_nc_u64_e32 v[6:7], 2, v[2:3]
	v_cndmask_b32_e64 v12, 0, -1, vcc_lo
	s_delay_alu instid0(VALU_DEP_4) | instskip(SKIP_3) | instid1(VALU_DEP_1)
	v_cmp_eq_u32_e32 vcc_lo, s9, v9
	v_add_nc_u64_e32 v[4:5], 1, v[2:3]
	v_cndmask_b32_e64 v8, 0, -1, s0
	v_cmp_le_u32_e64 s0, s9, v9
	v_cndmask_b32_e64 v10, 0, -1, s0
	v_cmp_eq_u32_e64 s0, s9, v11
	s_delay_alu instid0(VALU_DEP_2) | instskip(SKIP_2) | instid1(VALU_DEP_3)
	v_cndmask_b32_e32 v8, v10, v8, vcc_lo
	v_cmp_le_u32_e32 vcc_lo, s9, v11
	v_cndmask_b32_e64 v9, 0, -1, vcc_lo
	v_cmp_ne_u32_e32 vcc_lo, 0, v8
	s_delay_alu instid0(VALU_DEP_2) | instskip(SKIP_1) | instid1(VALU_DEP_2)
	v_dual_cndmask_b32 v8, v9, v12, s0 :: v_dual_cndmask_b32 v4, v4, v6, vcc_lo
	v_cndmask_b32_e32 v5, v5, v7, vcc_lo
	v_cmp_ne_u32_e32 vcc_lo, 0, v8
	s_delay_alu instid0(VALU_DEP_2)
	v_dual_cndmask_b32 v3, v3, v5 :: v_dual_cndmask_b32 v2, v2, v4
.LBB3_3:
	s_and_not1_saveexec_b32 s0, s1
	s_cbranch_execz .LBB3_5
; %bb.4:
	v_cvt_f32_u32_e32 v2, s8
	s_sub_co_i32 s1, 0, s8
	s_delay_alu instid0(VALU_DEP_1) | instskip(SKIP_1) | instid1(TRANS32_DEP_1)
	v_rcp_iflag_f32_e32 v2, v2
	v_nop
	v_mul_f32_e32 v2, 0x4f7ffffe, v2
	s_delay_alu instid0(VALU_DEP_1) | instskip(NEXT) | instid1(VALU_DEP_1)
	v_cvt_u32_f32_e32 v2, v2
	v_mul_lo_u32 v3, s1, v2
	s_delay_alu instid0(VALU_DEP_1) | instskip(NEXT) | instid1(VALU_DEP_1)
	v_mul_hi_u32 v3, v2, v3
	v_add_nc_u32_e32 v2, v2, v3
	s_delay_alu instid0(VALU_DEP_1) | instskip(NEXT) | instid1(VALU_DEP_1)
	v_mul_hi_u32 v2, v0, v2
	v_mul_lo_u32 v3, v2, s8
	s_delay_alu instid0(VALU_DEP_1) | instskip(NEXT) | instid1(VALU_DEP_1)
	v_dual_add_nc_u32 v4, 1, v2 :: v_dual_sub_nc_u32 v3, v0, v3
	v_subrev_nc_u32_e32 v5, s8, v3
	v_cmp_le_u32_e32 vcc_lo, s8, v3
	s_delay_alu instid0(VALU_DEP_2) | instskip(NEXT) | instid1(VALU_DEP_1)
	v_dual_cndmask_b32 v3, v3, v5 :: v_dual_cndmask_b32 v2, v2, v4
	v_cmp_le_u32_e32 vcc_lo, s8, v3
	s_delay_alu instid0(VALU_DEP_2) | instskip(NEXT) | instid1(VALU_DEP_1)
	v_dual_mov_b32 v3, 0 :: v_dual_add_nc_u32 v4, 1, v2
	v_cndmask_b32_e32 v2, v2, v4, vcc_lo
.LBB3_5:
	s_or_b32 exec_lo, exec_lo, s0
	s_delay_alu instid0(VALU_DEP_1) | instskip(SKIP_2) | instid1(VALU_DEP_2)
	v_mul_u64_e32 v[4:5], s[8:9], v[2:3]
                                        ; implicit-def: $vgpr8_vgpr9
	s_mov_b32 s0, exec_lo
	v_mov_b32_e32 v6, 0
	v_sub_nc_u64_e32 v[4:5], v[0:1], v[4:5]
	s_delay_alu instid0(VALU_DEP_1) | instskip(NEXT) | instid1(VALU_DEP_1)
	v_or_b32_e32 v7, s11, v5
	v_cmpx_ne_u64_e32 0, v[6:7]
	s_xor_b32 s1, exec_lo, s0
	s_cbranch_execz .LBB3_7
; %bb.6:
	s_cvt_f32_u32 s0, s10
	s_cvt_f32_u32 s2, s11
	s_sub_nc_u64 s[8:9], 0, s[10:11]
	s_mov_b32 s17, 0
	v_dual_mov_b32 v8, v4 :: v_dual_mov_b32 v9, v6
	s_fmamk_f32 s0, s2, 0x4f800000, s0
	v_dual_mov_b32 v10, v5 :: v_dual_mov_b32 v11, v6
	v_dual_mov_b32 v15, v6 :: v_dual_mov_b32 v7, v6
	s_delay_alu instid0(SALU_CYCLE_1) | instskip(NEXT) | instid1(TRANS32_DEP_1)
	v_s_rcp_f32 s0, s0
	s_mul_f32 s0, s0, 0x5f7ffffc
	s_delay_alu instid0(SALU_CYCLE_3) | instskip(NEXT) | instid1(SALU_CYCLE_3)
	s_mul_f32 s2, s0, 0x2f800000
	s_trunc_f32 s2, s2
	s_delay_alu instid0(SALU_CYCLE_3) | instskip(SKIP_1) | instid1(SALU_CYCLE_2)
	s_fmamk_f32 s0, s2, 0xcf800000, s0
	s_cvt_u32_f32 s3, s2
	s_cvt_u32_f32 s2, s0
	s_delay_alu instid0(SALU_CYCLE_3) | instskip(NEXT) | instid1(SALU_CYCLE_1)
	s_mul_u64 s[14:15], s[8:9], s[2:3]
	s_mul_hi_u32 s19, s2, s15
	s_mul_i32 s18, s2, s15
	s_mul_hi_u32 s16, s2, s14
	s_mul_i32 s20, s3, s14
	s_add_nc_u64 s[18:19], s[16:17], s[18:19]
	s_mul_hi_u32 s0, s3, s14
	s_mul_hi_u32 s21, s3, s15
	s_mul_i32 s14, s3, s15
	s_add_co_u32 s15, s18, s20
	s_add_co_ci_u32 s16, s19, s0
	s_add_co_ci_u32 s15, s21, 0
	s_delay_alu instid0(SALU_CYCLE_1) | instskip(NEXT) | instid1(SALU_CYCLE_1)
	s_add_nc_u64 s[14:15], s[16:17], s[14:15]
	s_add_co_u32 s2, s2, s14
	s_cselect_b32 s0, -1, 0
	s_delay_alu instid0(SALU_CYCLE_1) | instskip(SKIP_1) | instid1(SALU_CYCLE_1)
	s_cmp_lg_u32 s0, 0
	s_add_co_ci_u32 s3, s3, s15
	s_mul_u64 s[8:9], s[8:9], s[2:3]
	s_delay_alu instid0(SALU_CYCLE_1)
	s_mul_hi_u32 s15, s2, s9
	s_mul_i32 s14, s2, s9
	s_mul_hi_u32 s16, s2, s8
	s_mul_i32 s18, s3, s8
	s_add_nc_u64 s[14:15], s[16:17], s[14:15]
	s_mul_hi_u32 s0, s3, s8
	s_mul_hi_u32 s19, s3, s9
	s_mul_i32 s8, s3, s9
	s_add_co_u32 s9, s14, s18
	s_add_co_ci_u32 s16, s15, s0
	s_add_co_ci_u32 s9, s19, 0
	s_delay_alu instid0(SALU_CYCLE_1) | instskip(NEXT) | instid1(SALU_CYCLE_1)
	s_add_nc_u64 s[8:9], s[16:17], s[8:9]
	s_add_co_u32 s0, s2, s8
	s_cselect_b32 s2, -1, 0
	v_nop
	v_mul_hi_u32 v14, v4, s0
	s_cmp_lg_u32 s2, 0
	s_add_co_ci_u32 s16, s3, s9
	s_mov_b64 s[2:3], 0xffffffff
	v_mul_u64_e32 v[8:9], s[16:17], v[8:9]
	s_and_b64 s[2:3], s[0:1], s[2:3]
	s_delay_alu instid0(SALU_CYCLE_1) | instskip(SKIP_1) | instid1(VALU_DEP_3)
	v_mul_u64_e32 v[12:13], s[2:3], v[10:11]
	v_mul_u64_e32 v[10:11], s[16:17], v[10:11]
	v_add_nc_u64_e32 v[8:9], v[14:15], v[8:9]
	s_delay_alu instid0(VALU_DEP_1) | instskip(NEXT) | instid1(VALU_DEP_2)
	v_add_co_u32 v6, vcc_lo, v8, v12
	v_add_co_ci_u32_e32 v6, vcc_lo, v9, v13, vcc_lo
	s_delay_alu instid0(VALU_DEP_4) | instskip(NEXT) | instid1(VALU_DEP_1)
	v_add_co_ci_u32_e32 v11, vcc_lo, 0, v11, vcc_lo
	v_add_nc_u64_e32 v[6:7], v[6:7], v[10:11]
	s_delay_alu instid0(VALU_DEP_1) | instskip(NEXT) | instid1(VALU_DEP_1)
	v_mul_u64_e32 v[8:9], s[10:11], v[6:7]
	v_sub_nc_u32_e32 v10, v5, v9
	s_delay_alu instid0(VALU_DEP_2) | instskip(NEXT) | instid1(VALU_DEP_1)
	v_sub_co_u32 v8, vcc_lo, v4, v8
	v_sub_co_ci_u32_e64 v15, null, v5, v9, vcc_lo
	s_delay_alu instid0(VALU_DEP_3) | instskip(NEXT) | instid1(VALU_DEP_3)
	v_subrev_co_ci_u32_e64 v10, null, s11, v10, vcc_lo
	v_sub_co_u32 v12, s0, v8, s10
	v_cmp_le_u32_e32 vcc_lo, s10, v8
	s_delay_alu instid0(VALU_DEP_3) | instskip(NEXT) | instid1(VALU_DEP_3)
	v_subrev_co_ci_u32_e64 v13, null, 0, v10, s0
	v_cmp_le_u32_e64 s0, s10, v12
	v_add_nc_u64_e32 v[10:11], 2, v[6:7]
	v_cndmask_b32_e64 v16, 0, -1, vcc_lo
	s_delay_alu instid0(VALU_DEP_4) | instskip(SKIP_3) | instid1(VALU_DEP_1)
	v_cmp_eq_u32_e32 vcc_lo, s11, v13
	v_add_nc_u64_e32 v[8:9], 1, v[6:7]
	v_cndmask_b32_e64 v12, 0, -1, s0
	v_cmp_le_u32_e64 s0, s11, v13
	v_cndmask_b32_e64 v14, 0, -1, s0
	v_cmp_eq_u32_e64 s0, s11, v15
	s_delay_alu instid0(VALU_DEP_2) | instskip(SKIP_2) | instid1(VALU_DEP_3)
	v_cndmask_b32_e32 v12, v14, v12, vcc_lo
	v_cmp_le_u32_e32 vcc_lo, s11, v15
	v_cndmask_b32_e64 v13, 0, -1, vcc_lo
	v_cmp_ne_u32_e32 vcc_lo, 0, v12
	s_delay_alu instid0(VALU_DEP_2) | instskip(SKIP_1) | instid1(VALU_DEP_2)
	v_dual_cndmask_b32 v12, v13, v16, s0 :: v_dual_cndmask_b32 v8, v8, v10, vcc_lo
	v_cndmask_b32_e32 v9, v9, v11, vcc_lo
	v_cmp_ne_u32_e32 vcc_lo, 0, v12
	s_delay_alu instid0(VALU_DEP_2)
	v_dual_cndmask_b32 v8, v6, v8 :: v_dual_cndmask_b32 v9, v7, v9
.LBB3_7:
	s_and_not1_saveexec_b32 s0, s1
	s_cbranch_execz .LBB3_9
; %bb.8:
	v_cvt_f32_u32_e32 v6, s10
	s_sub_co_i32 s1, 0, s10
	s_delay_alu instid0(VALU_DEP_1) | instskip(SKIP_1) | instid1(TRANS32_DEP_1)
	v_rcp_iflag_f32_e32 v6, v6
	v_nop
	v_mul_f32_e32 v6, 0x4f7ffffe, v6
	s_delay_alu instid0(VALU_DEP_1) | instskip(NEXT) | instid1(VALU_DEP_1)
	v_cvt_u32_f32_e32 v6, v6
	v_mul_lo_u32 v7, s1, v6
	s_delay_alu instid0(VALU_DEP_1) | instskip(NEXT) | instid1(VALU_DEP_1)
	v_mul_hi_u32 v7, v6, v7
	v_add_nc_u32_e32 v6, v6, v7
	s_delay_alu instid0(VALU_DEP_1) | instskip(NEXT) | instid1(VALU_DEP_1)
	v_mul_hi_u32 v6, v4, v6
	v_mul_lo_u32 v7, v6, s10
	s_delay_alu instid0(VALU_DEP_1) | instskip(NEXT) | instid1(VALU_DEP_1)
	v_dual_add_nc_u32 v8, 1, v6 :: v_dual_sub_nc_u32 v7, v4, v7
	v_subrev_nc_u32_e32 v9, s10, v7
	v_cmp_le_u32_e32 vcc_lo, s10, v7
	s_delay_alu instid0(VALU_DEP_2) | instskip(NEXT) | instid1(VALU_DEP_4)
	v_dual_cndmask_b32 v7, v7, v9, vcc_lo :: v_dual_mov_b32 v9, 0
	v_cndmask_b32_e32 v6, v6, v8, vcc_lo
	s_delay_alu instid0(VALU_DEP_2) | instskip(NEXT) | instid1(VALU_DEP_2)
	v_cmp_le_u32_e32 vcc_lo, s10, v7
	v_add_nc_u32_e32 v8, 1, v6
	s_delay_alu instid0(VALU_DEP_1)
	v_cndmask_b32_e32 v8, v6, v8, vcc_lo
.LBB3_9:
	s_or_b32 exec_lo, exec_lo, s0
	s_delay_alu instid0(VALU_DEP_1) | instskip(SKIP_1) | instid1(VALU_DEP_1)
	v_mul_u64_e32 v[6:7], s[10:11], v[8:9]
	v_mad_nc_u64_u32 v[8:9], v2, s6, v[8:9]
	v_mad_u32 v3, v3, s6, v9
	s_delay_alu instid0(VALU_DEP_1) | instskip(NEXT) | instid1(VALU_DEP_4)
	v_mad_u32 v2, v2, s7, v3
	v_sub_nc_u64_e32 v[4:5], v[4:5], v[6:7]
	s_delay_alu instid0(VALU_DEP_1) | instskip(NEXT) | instid1(VALU_DEP_1)
	v_mad_nc_u64_u32 v[4:5], v8, s4, v[4:5]
	v_mad_u32 v2, v2, s4, v5
	s_delay_alu instid0(VALU_DEP_2) | instskip(NEXT) | instid1(VALU_DEP_2)
	v_cvt_f64_u32_e32 v[6:7], v4
	v_mad_u32 v5, v8, s5, v2
                                        ; implicit-def: $vgpr8
	s_delay_alu instid0(VALU_DEP_1) | instskip(SKIP_1) | instid1(VALU_DEP_2)
	v_cvt_f64_u32_e32 v[2:3], v5
	v_cmp_lt_u64_e32 vcc_lo, 0x3fffffff, v[4:5]
                                        ; implicit-def: $vgpr4_vgpr5
	v_ldexp_f64 v[2:3], v[2:3], 32
	s_delay_alu instid0(VALU_DEP_1) | instskip(SKIP_1) | instid1(SALU_CYCLE_1)
	v_add_f64_e32 v[2:3], v[2:3], v[6:7]
                                        ; implicit-def: $vgpr6_vgpr7
	s_and_saveexec_b32 s0, vcc_lo
	s_xor_b32 s0, exec_lo, s0
	s_cbranch_execz .LBB3_11
; %bb.10:
	s_delay_alu instid0(VALU_DEP_1) | instskip(SKIP_3) | instid1(VALU_DEP_3)
	v_trig_preop_f64 v[4:5], v[2:3], 0
	v_trig_preop_f64 v[6:7], v[2:3], 1
	;; [unrolled: 1-line block ×3, first 2 shown]
	s_mov_b64 s[2:3], 0x3ff921fb54442d18
	v_dual_mul_f64 v[8:9], v[4:5], v[2:3] :: v_dual_mov_b32 v24, 0
	s_delay_alu instid0(VALU_DEP_3) | instskip(NEXT) | instid1(VALU_DEP_3)
	v_mul_f64_e32 v[10:11], v[6:7], v[2:3]
	v_mul_f64_e32 v[22:23], v[16:17], v[2:3]
	s_delay_alu instid0(VALU_DEP_3) | instskip(NEXT) | instid1(VALU_DEP_3)
	v_fma_f64 v[4:5], v[4:5], v[2:3], -v[8:9]
	v_fma_f64 v[6:7], v[6:7], v[2:3], -v[10:11]
	s_delay_alu instid0(VALU_DEP_3) | instskip(NEXT) | instid1(VALU_DEP_3)
	v_fma_f64 v[16:17], v[16:17], v[2:3], -v[22:23]
	v_add_f64_e32 v[12:13], v[10:11], v[4:5]
	s_delay_alu instid0(VALU_DEP_1) | instskip(SKIP_1) | instid1(VALU_DEP_2)
	v_add_f64_e64 v[14:15], v[12:13], -v[10:11]
	v_add_f64_e32 v[20:21], v[8:9], v[12:13]
	v_add_f64_e64 v[18:19], v[12:13], -v[14:15]
	v_add_f64_e64 v[4:5], v[4:5], -v[14:15]
	s_delay_alu instid0(VALU_DEP_3) | instskip(NEXT) | instid1(VALU_DEP_3)
	v_ldexp_f64 v[14:15], v[20:21], -2
	v_add_f64_e64 v[10:11], v[10:11], -v[18:19]
	v_add_f64_e32 v[18:19], v[22:23], v[6:7]
	s_delay_alu instid0(VALU_DEP_3) | instskip(NEXT) | instid1(VALU_DEP_3)
	v_cmp_neq_f64_e64 vcc_lo, 0x7ff00000, |v[14:15]|
	v_add_f64_e32 v[4:5], v[4:5], v[10:11]
	v_fract_f64_e32 v[10:11], v[14:15]
	s_delay_alu instid0(VALU_DEP_1) | instskip(NEXT) | instid1(VALU_DEP_1)
	v_ldexp_f64 v[10:11], v[10:11], 2
	v_dual_add_f64 v[8:9], v[20:21], -v[8:9] :: v_dual_cndmask_b32 v10, 0, v10, vcc_lo
	s_delay_alu instid0(VALU_DEP_1) | instskip(SKIP_1) | instid1(VALU_DEP_1)
	v_dual_add_f64 v[8:9], v[12:13], -v[8:9] :: v_dual_cndmask_b32 v11, 0, v11, vcc_lo
	v_add_f64_e32 v[12:13], v[18:19], v[4:5]
	v_add_f64_e32 v[14:15], v[8:9], v[12:13]
	v_add_f64_e64 v[26:27], v[12:13], -v[18:19]
	s_delay_alu instid0(VALU_DEP_2) | instskip(NEXT) | instid1(VALU_DEP_2)
	v_add_f64_e32 v[20:21], v[14:15], v[10:11]
	v_add_f64_e64 v[32:33], v[12:13], -v[26:27]
	v_add_f64_e64 v[4:5], v[4:5], -v[26:27]
	;; [unrolled: 1-line block ×3, first 2 shown]
	s_delay_alu instid0(VALU_DEP_4) | instskip(SKIP_1) | instid1(VALU_DEP_3)
	v_cmp_gt_f64_e32 vcc_lo, 0, v[20:21]
	v_add_f64_e64 v[20:21], v[18:19], -v[22:23]
	v_add_f64_e64 v[8:9], v[12:13], -v[8:9]
	v_cndmask_b32_e64 v25, 0, 0x40100000, vcc_lo
	s_delay_alu instid0(VALU_DEP_3) | instskip(SKIP_2) | instid1(VALU_DEP_4)
	v_add_f64_e64 v[30:31], v[18:19], -v[20:21]
	v_add_f64_e64 v[6:7], v[6:7], -v[20:21]
	;; [unrolled: 1-line block ×3, first 2 shown]
	v_add_f64_e32 v[10:11], v[10:11], v[24:25]
	s_delay_alu instid0(VALU_DEP_4) | instskip(NEXT) | instid1(VALU_DEP_3)
	v_add_f64_e64 v[20:21], v[22:23], -v[30:31]
	v_add_f64_e32 v[4:5], v[4:5], v[18:19]
	s_delay_alu instid0(VALU_DEP_3) | instskip(NEXT) | instid1(VALU_DEP_3)
	v_add_f64_e32 v[28:29], v[14:15], v[10:11]
	v_add_f64_e32 v[6:7], v[6:7], v[20:21]
	s_delay_alu instid0(VALU_DEP_2) | instskip(NEXT) | instid1(VALU_DEP_2)
	v_cvt_i32_f64_e32 v25, v[28:29]
	v_add_f64_e32 v[4:5], v[6:7], v[4:5]
	s_delay_alu instid0(VALU_DEP_2) | instskip(NEXT) | instid1(VALU_DEP_2)
	v_cvt_f64_i32_e32 v[26:27], v25
	v_add_f64_e32 v[4:5], v[16:17], v[4:5]
	s_delay_alu instid0(VALU_DEP_2) | instskip(NEXT) | instid1(VALU_DEP_2)
	v_add_f64_e64 v[10:11], v[10:11], -v[26:27]
	v_add_f64_e32 v[4:5], v[8:9], v[4:5]
	s_delay_alu instid0(VALU_DEP_2) | instskip(NEXT) | instid1(VALU_DEP_1)
	v_add_f64_e32 v[6:7], v[14:15], v[10:11]
	v_add_f64_e64 v[10:11], v[6:7], -v[10:11]
	v_cmp_le_f64_e32 vcc_lo, 0.5, v[6:7]
	s_delay_alu instid0(VALU_DEP_2) | instskip(SKIP_2) | instid1(VALU_DEP_1)
	v_add_f64_e64 v[10:11], v[14:15], -v[10:11]
	v_add_co_ci_u32_e64 v8, null, 0, v25, vcc_lo
	v_cndmask_b32_e64 v25, 0, 0x3ff00000, vcc_lo
	v_add_f64_e64 v[6:7], v[6:7], -v[24:25]
	s_delay_alu instid0(VALU_DEP_4) | instskip(NEXT) | instid1(VALU_DEP_1)
	v_add_f64_e32 v[4:5], v[4:5], v[10:11]
	v_add_f64_e32 v[10:11], v[6:7], v[4:5]
	s_delay_alu instid0(VALU_DEP_1) | instskip(SKIP_1) | instid1(VALU_DEP_2)
	v_mul_f64_e32 v[12:13], 0x3ff921fb54442d18, v[10:11]
	v_add_f64_e64 v[6:7], v[10:11], -v[6:7]
	v_fma_f64 v[14:15], v[10:11], s[2:3], -v[12:13]
	s_delay_alu instid0(VALU_DEP_2) | instskip(NEXT) | instid1(VALU_DEP_2)
	v_add_f64_e64 v[4:5], v[4:5], -v[6:7]
	v_fmamk_f64 v[6:7], v[10:11], 0x3c91a62633145c07, v[14:15]
	s_delay_alu instid0(VALU_DEP_1) | instskip(NEXT) | instid1(VALU_DEP_1)
	v_fmac_f64_e32 v[6:7], 0x3ff921fb54442d18, v[4:5]
	v_add_f64_e32 v[4:5], v[12:13], v[6:7]
	s_delay_alu instid0(VALU_DEP_1) | instskip(NEXT) | instid1(VALU_DEP_1)
	v_add_f64_e64 v[10:11], v[4:5], -v[12:13]
	v_add_f64_e64 v[6:7], v[6:7], -v[10:11]
.LBB3_11:
	s_and_not1_saveexec_b32 s0, s0
	s_cbranch_execz .LBB3_13
; %bb.12:
	s_delay_alu instid0(VALU_DEP_1) | instskip(NEXT) | instid1(VALU_DEP_1)
	v_mul_f64_e32 v[4:5], 0x3fe45f306dc9c883, v[2:3]
	v_rndne_f64_e32 v[8:9], v[4:5]
	s_delay_alu instid0(VALU_DEP_1) | instskip(SKIP_1) | instid1(VALU_DEP_1)
	v_mul_f64_e32 v[4:5], 0xbc91a62633145c00, v[8:9]
	v_fmamk_f64 v[6:7], v[8:9], 0xbff921fb54442d18, v[2:3]
	v_add_f64_e32 v[10:11], v[6:7], v[4:5]
	s_delay_alu instid0(VALU_DEP_1) | instskip(SKIP_1) | instid1(VALU_DEP_1)
	v_add_f64_e64 v[12:13], v[6:7], -v[10:11]
	v_fmamk_f64 v[6:7], v[8:9], 0xbc91a62633145c00, v[6:7]
	v_add_f64_e64 v[10:11], v[10:11], -v[6:7]
	s_delay_alu instid0(VALU_DEP_3) | instskip(SKIP_1) | instid1(VALU_DEP_2)
	v_add_f64_e32 v[12:13], v[12:13], v[4:5]
	v_fmamk_f64 v[4:5], v[8:9], 0x3c91a62633145c00, v[4:5]
	v_add_f64_e32 v[10:11], v[10:11], v[12:13]
	s_delay_alu instid0(VALU_DEP_1) | instskip(NEXT) | instid1(VALU_DEP_1)
	v_add_f64_e64 v[4:5], v[10:11], -v[4:5]
	v_fmamk_f64 v[10:11], v[8:9], 0xb97b839a252049c0, v[4:5]
	v_cvt_i32_f64_e32 v8, v[8:9]
	s_delay_alu instid0(VALU_DEP_2) | instskip(NEXT) | instid1(VALU_DEP_1)
	v_add_f64_e32 v[4:5], v[6:7], v[10:11]
	v_add_f64_e64 v[6:7], v[4:5], -v[6:7]
	s_delay_alu instid0(VALU_DEP_1)
	v_add_f64_e64 v[6:7], v[10:11], -v[6:7]
.LBB3_13:
	s_or_b32 exec_lo, exec_lo, s0
	v_mul_f64_e32 v[10:11], v[4:5], v[4:5]
	s_delay_alu instid0(VALU_DEP_2) | instskip(SKIP_3) | instid1(VALU_DEP_1)
	v_mul_f64_e32 v[18:19], 0.5, v[6:7]
	s_mov_b64 s[0:1], 0x3de5e0b2f9a43bb8
	v_lshl_add_u64 v[0:1], v[0:1], 2, s[12:13]
	v_dual_lshlrev_b32 v8, 30, v8 :: v_dual_bitop2_b32 v2, 1, v8 bitop3:0x40
	v_cmp_eq_u32_e32 vcc_lo, 0, v2
	s_delay_alu instid0(VALU_DEP_2) | instskip(SKIP_4) | instid1(VALU_DEP_3)
	v_xor_b32_e32 v3, v8, v3
	v_mul_f64_e32 v[12:13], 0.5, v[10:11]
	v_mul_f64_e64 v[20:21], v[4:5], -v[10:11]
	v_fmaak_f64 v[22:23], s[0:1], v[10:11], 0xbe5ae600b42fdfa7
	s_mov_b64 s[0:1], 0xbda907db46cc5e42
	v_add_f64_e64 v[14:15], -v[12:13], 1.0
	s_delay_alu instid0(VALU_DEP_1) | instskip(NEXT) | instid1(VALU_DEP_1)
	v_add_f64_e64 v[16:17], -v[14:15], 1.0
	v_add_f64_e64 v[12:13], v[16:17], -v[12:13]
	s_delay_alu instid0(VALU_DEP_4) | instskip(SKIP_1) | instid1(VALU_DEP_2)
	v_fmaak_f64 v[16:17], v[10:11], v[22:23], 0x3ec71de3796cde01
	v_mul_f64_e32 v[22:23], v[10:11], v[10:11]
	v_fmaak_f64 v[16:17], v[10:11], v[16:17], 0xbf2a01a019e83e5c
	s_delay_alu instid0(VALU_DEP_1) | instskip(NEXT) | instid1(VALU_DEP_1)
	v_fmaak_f64 v[16:17], v[10:11], v[16:17], 0x3f81111111110bb3
	v_fmac_f64_e32 v[18:19], v[20:21], v[16:17]
	v_fmaak_f64 v[16:17], s[0:1], v[10:11], 0x3e21eeb69037ab78
	s_delay_alu instid0(VALU_DEP_1) | instskip(SKIP_1) | instid1(VALU_DEP_2)
	v_fmaak_f64 v[16:17], v[10:11], v[16:17], 0xbe927e4fa17f65f6
	v_fma_f64 v[12:13], v[4:5], -v[6:7], v[12:13]
	v_fmaak_f64 v[16:17], v[10:11], v[16:17], 0x3efa01a019f4ec90
	s_delay_alu instid0(VALU_DEP_1) | instskip(SKIP_1) | instid1(VALU_DEP_2)
	v_fmaak_f64 v[16:17], v[10:11], v[16:17], 0xbf56c16c16c16967
	v_fma_f64 v[6:7], v[10:11], v[18:19], -v[6:7]
	v_fmaak_f64 v[10:11], v[10:11], v[16:17], 0x3fa5555555555555
	s_delay_alu instid0(VALU_DEP_1) | instskip(NEXT) | instid1(VALU_DEP_3)
	v_fmac_f64_e32 v[12:13], v[22:23], v[10:11]
	v_fmamk_f64 v[6:7], v[20:21], 0xbfc5555555555555, v[6:7]
	s_delay_alu instid0(VALU_DEP_1) | instskip(NEXT) | instid1(VALU_DEP_3)
	v_add_f64_e64 v[4:5], v[4:5], -v[6:7]
	v_add_f64_e32 v[6:7], v[14:15], v[12:13]
	s_delay_alu instid0(VALU_DEP_1) | instskip(NEXT) | instid1(VALU_DEP_1)
	v_dual_cndmask_b32 v2, v6, v4, vcc_lo :: v_dual_cndmask_b32 v4, v7, v5, vcc_lo
	v_bitop3_b32 v3, v4, v3, 0x80000000 bitop3:0x78
	s_delay_alu instid0(VALU_DEP_1)
	v_cvt_f32_f64_e32 v2, v[2:3]
	global_store_b32 v[0:1], v2, off
.LBB3_14:
	s_endpgm
	.section	.rodata,"a",@progbits
	.p2align	6, 0x0
	.amdhsa_kernel _Z11fill_kernelIfZ21hipblaslt_init_deviceIfEv8ABC_dims24hipblaslt_initializationbPT_mmmmmEUlmE2_EvS4_mmT0_
		.amdhsa_group_segment_fixed_size 0
		.amdhsa_private_segment_fixed_size 0
		.amdhsa_kernarg_size 312
		.amdhsa_user_sgpr_count 2
		.amdhsa_user_sgpr_dispatch_ptr 0
		.amdhsa_user_sgpr_queue_ptr 0
		.amdhsa_user_sgpr_kernarg_segment_ptr 1
		.amdhsa_user_sgpr_dispatch_id 0
		.amdhsa_user_sgpr_kernarg_preload_length 0
		.amdhsa_user_sgpr_kernarg_preload_offset 0
		.amdhsa_user_sgpr_private_segment_size 0
		.amdhsa_wavefront_size32 1
		.amdhsa_uses_dynamic_stack 0
		.amdhsa_enable_private_segment 0
		.amdhsa_system_sgpr_workgroup_id_x 1
		.amdhsa_system_sgpr_workgroup_id_y 0
		.amdhsa_system_sgpr_workgroup_id_z 0
		.amdhsa_system_sgpr_workgroup_info 0
		.amdhsa_system_vgpr_workitem_id 0
		.amdhsa_next_free_vgpr 34
		.amdhsa_next_free_sgpr 24
		.amdhsa_named_barrier_count 0
		.amdhsa_reserve_vcc 1
		.amdhsa_float_round_mode_32 0
		.amdhsa_float_round_mode_16_64 0
		.amdhsa_float_denorm_mode_32 3
		.amdhsa_float_denorm_mode_16_64 3
		.amdhsa_fp16_overflow 0
		.amdhsa_memory_ordered 1
		.amdhsa_forward_progress 1
		.amdhsa_inst_pref_size 22
		.amdhsa_round_robin_scheduling 0
		.amdhsa_exception_fp_ieee_invalid_op 0
		.amdhsa_exception_fp_denorm_src 0
		.amdhsa_exception_fp_ieee_div_zero 0
		.amdhsa_exception_fp_ieee_overflow 0
		.amdhsa_exception_fp_ieee_underflow 0
		.amdhsa_exception_fp_ieee_inexact 0
		.amdhsa_exception_int_div_zero 0
	.end_amdhsa_kernel
	.section	.text._Z11fill_kernelIfZ21hipblaslt_init_deviceIfEv8ABC_dims24hipblaslt_initializationbPT_mmmmmEUlmE2_EvS4_mmT0_,"axG",@progbits,_Z11fill_kernelIfZ21hipblaslt_init_deviceIfEv8ABC_dims24hipblaslt_initializationbPT_mmmmmEUlmE2_EvS4_mmT0_,comdat
.Lfunc_end3:
	.size	_Z11fill_kernelIfZ21hipblaslt_init_deviceIfEv8ABC_dims24hipblaslt_initializationbPT_mmmmmEUlmE2_EvS4_mmT0_, .Lfunc_end3-_Z11fill_kernelIfZ21hipblaslt_init_deviceIfEv8ABC_dims24hipblaslt_initializationbPT_mmmmmEUlmE2_EvS4_mmT0_
                                        ; -- End function
	.set _Z11fill_kernelIfZ21hipblaslt_init_deviceIfEv8ABC_dims24hipblaslt_initializationbPT_mmmmmEUlmE2_EvS4_mmT0_.num_vgpr, 34
	.set _Z11fill_kernelIfZ21hipblaslt_init_deviceIfEv8ABC_dims24hipblaslt_initializationbPT_mmmmmEUlmE2_EvS4_mmT0_.num_agpr, 0
	.set _Z11fill_kernelIfZ21hipblaslt_init_deviceIfEv8ABC_dims24hipblaslt_initializationbPT_mmmmmEUlmE2_EvS4_mmT0_.numbered_sgpr, 24
	.set _Z11fill_kernelIfZ21hipblaslt_init_deviceIfEv8ABC_dims24hipblaslt_initializationbPT_mmmmmEUlmE2_EvS4_mmT0_.num_named_barrier, 0
	.set _Z11fill_kernelIfZ21hipblaslt_init_deviceIfEv8ABC_dims24hipblaslt_initializationbPT_mmmmmEUlmE2_EvS4_mmT0_.private_seg_size, 0
	.set _Z11fill_kernelIfZ21hipblaslt_init_deviceIfEv8ABC_dims24hipblaslt_initializationbPT_mmmmmEUlmE2_EvS4_mmT0_.uses_vcc, 1
	.set _Z11fill_kernelIfZ21hipblaslt_init_deviceIfEv8ABC_dims24hipblaslt_initializationbPT_mmmmmEUlmE2_EvS4_mmT0_.uses_flat_scratch, 0
	.set _Z11fill_kernelIfZ21hipblaslt_init_deviceIfEv8ABC_dims24hipblaslt_initializationbPT_mmmmmEUlmE2_EvS4_mmT0_.has_dyn_sized_stack, 0
	.set _Z11fill_kernelIfZ21hipblaslt_init_deviceIfEv8ABC_dims24hipblaslt_initializationbPT_mmmmmEUlmE2_EvS4_mmT0_.has_recursion, 0
	.set _Z11fill_kernelIfZ21hipblaslt_init_deviceIfEv8ABC_dims24hipblaslt_initializationbPT_mmmmmEUlmE2_EvS4_mmT0_.has_indirect_call, 0
	.section	.AMDGPU.csdata,"",@progbits
; Kernel info:
; codeLenInByte = 2756
; TotalNumSgprs: 26
; NumVgprs: 34
; ScratchSize: 0
; MemoryBound: 0
; FloatMode: 240
; IeeeMode: 1
; LDSByteSize: 0 bytes/workgroup (compile time only)
; SGPRBlocks: 0
; VGPRBlocks: 2
; NumSGPRsForWavesPerEU: 26
; NumVGPRsForWavesPerEU: 34
; NamedBarCnt: 0
; Occupancy: 16
; WaveLimiterHint : 0
; COMPUTE_PGM_RSRC2:SCRATCH_EN: 0
; COMPUTE_PGM_RSRC2:USER_SGPR: 2
; COMPUTE_PGM_RSRC2:TRAP_HANDLER: 0
; COMPUTE_PGM_RSRC2:TGID_X_EN: 1
; COMPUTE_PGM_RSRC2:TGID_Y_EN: 0
; COMPUTE_PGM_RSRC2:TGID_Z_EN: 0
; COMPUTE_PGM_RSRC2:TIDIG_COMP_CNT: 0
	.section	.text._Z11fill_kernelIfZ21hipblaslt_init_deviceIfEv8ABC_dims24hipblaslt_initializationbPT_mmmmmEUlmE3_EvS4_mmT0_,"axG",@progbits,_Z11fill_kernelIfZ21hipblaslt_init_deviceIfEv8ABC_dims24hipblaslt_initializationbPT_mmmmmEUlmE3_EvS4_mmT0_,comdat
	.protected	_Z11fill_kernelIfZ21hipblaslt_init_deviceIfEv8ABC_dims24hipblaslt_initializationbPT_mmmmmEUlmE3_EvS4_mmT0_ ; -- Begin function _Z11fill_kernelIfZ21hipblaslt_init_deviceIfEv8ABC_dims24hipblaslt_initializationbPT_mmmmmEUlmE3_EvS4_mmT0_
	.globl	_Z11fill_kernelIfZ21hipblaslt_init_deviceIfEv8ABC_dims24hipblaslt_initializationbPT_mmmmmEUlmE3_EvS4_mmT0_
	.p2align	8
	.type	_Z11fill_kernelIfZ21hipblaslt_init_deviceIfEv8ABC_dims24hipblaslt_initializationbPT_mmmmmEUlmE3_EvS4_mmT0_,@function
_Z11fill_kernelIfZ21hipblaslt_init_deviceIfEv8ABC_dims24hipblaslt_initializationbPT_mmmmmEUlmE3_EvS4_mmT0_: ; @_Z11fill_kernelIfZ21hipblaslt_init_deviceIfEv8ABC_dims24hipblaslt_initializationbPT_mmmmmEUlmE3_EvS4_mmT0_
; %bb.0:
	s_clause 0x1
	s_load_b32 s2, s[0:1], 0x44
	s_load_b128 s[12:15], s[0:1], 0x0
	s_bfe_u32 s3, ttmp6, 0x4000c
	s_and_b32 s4, ttmp6, 15
	s_add_co_i32 s3, s3, 1
	s_getreg_b32 s5, hwreg(HW_REG_IB_STS2, 6, 4)
	s_mul_i32 s3, ttmp9, s3
	v_mov_b32_e32 v3, 0
	s_add_co_i32 s4, s4, s3
	s_wait_kmcnt 0x0
	s_and_b32 s2, s2, 0xffff
	s_cmp_eq_u32 s5, 0
	s_cselect_b32 s3, ttmp9, s4
	s_delay_alu instid0(SALU_CYCLE_1) | instskip(SKIP_1) | instid1(VALU_DEP_1)
	v_mad_u32 v2, s3, s2, v0
	s_mov_b32 s2, exec_lo
	v_cmpx_gt_u64_e64 s[14:15], v[2:3]
	s_cbranch_execz .LBB4_14
; %bb.1:
	s_clause 0x1
	s_load_b64 s[2:3], s[0:1], 0x10
	s_load_b256 s[4:11], s[0:1], 0x18
	s_wait_xcnt 0x0
	s_mov_b32 s0, exec_lo
	v_mov_b32_e32 v4, v3
	s_wait_kmcnt 0x0
	v_add_nc_u64_e32 v[0:1], s[2:3], v[2:3]
                                        ; implicit-def: $vgpr2_vgpr3
	s_delay_alu instid0(VALU_DEP_1) | instskip(NEXT) | instid1(VALU_DEP_1)
	v_or_b32_e32 v5, s9, v1
	v_cmpx_ne_u64_e32 0, v[4:5]
	s_xor_b32 s1, exec_lo, s0
	s_cbranch_execz .LBB4_3
; %bb.2:
	s_cvt_f32_u32 s0, s8
	s_cvt_f32_u32 s2, s9
	s_sub_nc_u64 s[14:15], 0, s[8:9]
	s_mov_b32 s19, 0
	v_dual_mov_b32 v3, 0 :: v_dual_mov_b32 v2, v0
	s_fmamk_f32 s0, s2, 0x4f800000, s0
	s_delay_alu instid0(SALU_CYCLE_3) | instskip(NEXT) | instid1(TRANS32_DEP_1)
	v_s_rcp_f32 s0, s0
	s_mul_f32 s0, s0, 0x5f7ffffc
	s_delay_alu instid0(SALU_CYCLE_3) | instskip(NEXT) | instid1(SALU_CYCLE_3)
	s_mul_f32 s2, s0, 0x2f800000
	s_trunc_f32 s2, s2
	s_delay_alu instid0(SALU_CYCLE_3) | instskip(SKIP_1) | instid1(SALU_CYCLE_2)
	s_fmamk_f32 s0, s2, 0xcf800000, s0
	s_cvt_u32_f32 s3, s2
	s_cvt_u32_f32 s2, s0
	s_delay_alu instid0(SALU_CYCLE_3) | instskip(NEXT) | instid1(SALU_CYCLE_1)
	s_mul_u64 s[16:17], s[14:15], s[2:3]
	s_mul_hi_u32 s21, s2, s17
	s_mul_i32 s20, s2, s17
	s_mul_hi_u32 s18, s2, s16
	s_mul_i32 s22, s3, s16
	s_add_nc_u64 s[20:21], s[18:19], s[20:21]
	s_mul_hi_u32 s0, s3, s16
	s_mul_hi_u32 s23, s3, s17
	s_mul_i32 s16, s3, s17
	s_add_co_u32 s17, s20, s22
	s_add_co_ci_u32 s18, s21, s0
	s_add_co_ci_u32 s17, s23, 0
	s_delay_alu instid0(SALU_CYCLE_1) | instskip(NEXT) | instid1(SALU_CYCLE_1)
	s_add_nc_u64 s[16:17], s[18:19], s[16:17]
	s_add_co_u32 s2, s2, s16
	s_cselect_b32 s0, -1, 0
	s_delay_alu instid0(SALU_CYCLE_1) | instskip(SKIP_1) | instid1(SALU_CYCLE_1)
	s_cmp_lg_u32 s0, 0
	s_add_co_ci_u32 s3, s3, s17
	s_mul_u64 s[14:15], s[14:15], s[2:3]
	s_delay_alu instid0(SALU_CYCLE_1)
	s_mul_hi_u32 s17, s2, s15
	s_mul_i32 s16, s2, s15
	s_mul_hi_u32 s18, s2, s14
	s_mul_i32 s20, s3, s14
	s_add_nc_u64 s[16:17], s[18:19], s[16:17]
	s_mul_hi_u32 s0, s3, s14
	s_mul_hi_u32 s21, s3, s15
	s_mul_i32 s14, s3, s15
	s_add_co_u32 s15, s16, s20
	s_add_co_ci_u32 s18, s17, s0
	s_add_co_ci_u32 s15, s21, 0
	s_delay_alu instid0(SALU_CYCLE_1) | instskip(NEXT) | instid1(SALU_CYCLE_1)
	s_add_nc_u64 s[14:15], s[18:19], s[14:15]
	s_add_co_u32 s0, s2, s14
	s_cselect_b32 s2, -1, 0
	s_delay_alu instid0(SALU_CYCLE_1)
	s_cmp_lg_u32 s2, 0
	s_add_co_ci_u32 s18, s3, s15
	s_mov_b64 s[2:3], 0xffffffff
	v_mul_u64_e32 v[4:5], s[18:19], v[2:3]
	v_mul_hi_u32 v2, v0, s0
	s_and_b64 s[2:3], s[0:1], s[2:3]
	s_delay_alu instid0(VALU_DEP_1) | instskip(SKIP_1) | instid1(VALU_DEP_1)
	v_add_nc_u64_e32 v[4:5], v[2:3], v[4:5]
	v_mov_b32_e32 v2, v1
	v_mul_u64_e32 v[6:7], s[2:3], v[2:3]
	v_mul_u64_e32 v[8:9], s[18:19], v[2:3]
	s_delay_alu instid0(VALU_DEP_2) | instskip(NEXT) | instid1(VALU_DEP_3)
	v_add_co_u32 v2, vcc_lo, v4, v6
	v_add_co_ci_u32_e32 v2, vcc_lo, v5, v7, vcc_lo
	s_delay_alu instid0(VALU_DEP_3) | instskip(NEXT) | instid1(VALU_DEP_1)
	v_add_co_ci_u32_e32 v9, vcc_lo, 0, v9, vcc_lo
	v_add_nc_u64_e32 v[2:3], v[2:3], v[8:9]
	s_delay_alu instid0(VALU_DEP_1) | instskip(NEXT) | instid1(VALU_DEP_1)
	v_mul_u64_e32 v[4:5], s[8:9], v[2:3]
	v_sub_nc_u32_e32 v6, v1, v5
	s_delay_alu instid0(VALU_DEP_2) | instskip(NEXT) | instid1(VALU_DEP_1)
	v_sub_co_u32 v4, vcc_lo, v0, v4
	v_sub_co_ci_u32_e64 v11, null, v1, v5, vcc_lo
	s_delay_alu instid0(VALU_DEP_3) | instskip(NEXT) | instid1(VALU_DEP_3)
	v_subrev_co_ci_u32_e64 v6, null, s9, v6, vcc_lo
	v_sub_co_u32 v8, s0, v4, s8
	v_cmp_le_u32_e32 vcc_lo, s8, v4
	s_delay_alu instid0(VALU_DEP_3) | instskip(NEXT) | instid1(VALU_DEP_3)
	v_subrev_co_ci_u32_e64 v9, null, 0, v6, s0
	v_cmp_le_u32_e64 s0, s8, v8
	v_add_nc_u64_e32 v[6:7], 2, v[2:3]
	v_cndmask_b32_e64 v12, 0, -1, vcc_lo
	s_delay_alu instid0(VALU_DEP_4) | instskip(SKIP_3) | instid1(VALU_DEP_1)
	v_cmp_eq_u32_e32 vcc_lo, s9, v9
	v_add_nc_u64_e32 v[4:5], 1, v[2:3]
	v_cndmask_b32_e64 v8, 0, -1, s0
	v_cmp_le_u32_e64 s0, s9, v9
	v_cndmask_b32_e64 v10, 0, -1, s0
	v_cmp_eq_u32_e64 s0, s9, v11
	s_delay_alu instid0(VALU_DEP_2) | instskip(SKIP_2) | instid1(VALU_DEP_3)
	v_cndmask_b32_e32 v8, v10, v8, vcc_lo
	v_cmp_le_u32_e32 vcc_lo, s9, v11
	v_cndmask_b32_e64 v9, 0, -1, vcc_lo
	v_cmp_ne_u32_e32 vcc_lo, 0, v8
	s_delay_alu instid0(VALU_DEP_2) | instskip(SKIP_1) | instid1(VALU_DEP_2)
	v_dual_cndmask_b32 v8, v9, v12, s0 :: v_dual_cndmask_b32 v4, v4, v6, vcc_lo
	v_cndmask_b32_e32 v5, v5, v7, vcc_lo
	v_cmp_ne_u32_e32 vcc_lo, 0, v8
	s_delay_alu instid0(VALU_DEP_2)
	v_dual_cndmask_b32 v3, v3, v5 :: v_dual_cndmask_b32 v2, v2, v4
.LBB4_3:
	s_and_not1_saveexec_b32 s0, s1
	s_cbranch_execz .LBB4_5
; %bb.4:
	v_cvt_f32_u32_e32 v2, s8
	s_sub_co_i32 s1, 0, s8
	s_delay_alu instid0(VALU_DEP_1) | instskip(SKIP_1) | instid1(TRANS32_DEP_1)
	v_rcp_iflag_f32_e32 v2, v2
	v_nop
	v_mul_f32_e32 v2, 0x4f7ffffe, v2
	s_delay_alu instid0(VALU_DEP_1) | instskip(NEXT) | instid1(VALU_DEP_1)
	v_cvt_u32_f32_e32 v2, v2
	v_mul_lo_u32 v3, s1, v2
	s_delay_alu instid0(VALU_DEP_1) | instskip(NEXT) | instid1(VALU_DEP_1)
	v_mul_hi_u32 v3, v2, v3
	v_add_nc_u32_e32 v2, v2, v3
	s_delay_alu instid0(VALU_DEP_1) | instskip(NEXT) | instid1(VALU_DEP_1)
	v_mul_hi_u32 v2, v0, v2
	v_mul_lo_u32 v3, v2, s8
	s_delay_alu instid0(VALU_DEP_1) | instskip(NEXT) | instid1(VALU_DEP_1)
	v_dual_add_nc_u32 v4, 1, v2 :: v_dual_sub_nc_u32 v3, v0, v3
	v_subrev_nc_u32_e32 v5, s8, v3
	v_cmp_le_u32_e32 vcc_lo, s8, v3
	s_delay_alu instid0(VALU_DEP_2) | instskip(NEXT) | instid1(VALU_DEP_1)
	v_dual_cndmask_b32 v3, v3, v5 :: v_dual_cndmask_b32 v2, v2, v4
	v_cmp_le_u32_e32 vcc_lo, s8, v3
	s_delay_alu instid0(VALU_DEP_2) | instskip(NEXT) | instid1(VALU_DEP_1)
	v_dual_mov_b32 v3, 0 :: v_dual_add_nc_u32 v4, 1, v2
	v_cndmask_b32_e32 v2, v2, v4, vcc_lo
.LBB4_5:
	s_or_b32 exec_lo, exec_lo, s0
	s_delay_alu instid0(VALU_DEP_1) | instskip(SKIP_2) | instid1(VALU_DEP_2)
	v_mul_u64_e32 v[4:5], s[8:9], v[2:3]
                                        ; implicit-def: $vgpr8_vgpr9
	s_mov_b32 s0, exec_lo
	v_mov_b32_e32 v6, 0
	v_sub_nc_u64_e32 v[4:5], v[0:1], v[4:5]
	s_delay_alu instid0(VALU_DEP_1) | instskip(NEXT) | instid1(VALU_DEP_1)
	v_or_b32_e32 v7, s11, v5
	v_cmpx_ne_u64_e32 0, v[6:7]
	s_xor_b32 s1, exec_lo, s0
	s_cbranch_execz .LBB4_7
; %bb.6:
	s_cvt_f32_u32 s0, s10
	s_cvt_f32_u32 s2, s11
	s_sub_nc_u64 s[8:9], 0, s[10:11]
	s_mov_b32 s17, 0
	v_dual_mov_b32 v8, v4 :: v_dual_mov_b32 v9, v6
	s_fmamk_f32 s0, s2, 0x4f800000, s0
	v_dual_mov_b32 v10, v5 :: v_dual_mov_b32 v11, v6
	v_dual_mov_b32 v15, v6 :: v_dual_mov_b32 v7, v6
	s_delay_alu instid0(SALU_CYCLE_1) | instskip(NEXT) | instid1(TRANS32_DEP_1)
	v_s_rcp_f32 s0, s0
	s_mul_f32 s0, s0, 0x5f7ffffc
	s_delay_alu instid0(SALU_CYCLE_3) | instskip(NEXT) | instid1(SALU_CYCLE_3)
	s_mul_f32 s2, s0, 0x2f800000
	s_trunc_f32 s2, s2
	s_delay_alu instid0(SALU_CYCLE_3) | instskip(SKIP_1) | instid1(SALU_CYCLE_2)
	s_fmamk_f32 s0, s2, 0xcf800000, s0
	s_cvt_u32_f32 s3, s2
	s_cvt_u32_f32 s2, s0
	s_delay_alu instid0(SALU_CYCLE_3) | instskip(NEXT) | instid1(SALU_CYCLE_1)
	s_mul_u64 s[14:15], s[8:9], s[2:3]
	s_mul_hi_u32 s19, s2, s15
	s_mul_i32 s18, s2, s15
	s_mul_hi_u32 s16, s2, s14
	s_mul_i32 s20, s3, s14
	s_add_nc_u64 s[18:19], s[16:17], s[18:19]
	s_mul_hi_u32 s0, s3, s14
	s_mul_hi_u32 s21, s3, s15
	s_mul_i32 s14, s3, s15
	s_add_co_u32 s15, s18, s20
	s_add_co_ci_u32 s16, s19, s0
	s_add_co_ci_u32 s15, s21, 0
	s_delay_alu instid0(SALU_CYCLE_1) | instskip(NEXT) | instid1(SALU_CYCLE_1)
	s_add_nc_u64 s[14:15], s[16:17], s[14:15]
	s_add_co_u32 s2, s2, s14
	s_cselect_b32 s0, -1, 0
	s_delay_alu instid0(SALU_CYCLE_1) | instskip(SKIP_1) | instid1(SALU_CYCLE_1)
	s_cmp_lg_u32 s0, 0
	s_add_co_ci_u32 s3, s3, s15
	s_mul_u64 s[8:9], s[8:9], s[2:3]
	s_delay_alu instid0(SALU_CYCLE_1)
	s_mul_hi_u32 s15, s2, s9
	s_mul_i32 s14, s2, s9
	s_mul_hi_u32 s16, s2, s8
	s_mul_i32 s18, s3, s8
	s_add_nc_u64 s[14:15], s[16:17], s[14:15]
	s_mul_hi_u32 s0, s3, s8
	s_mul_hi_u32 s19, s3, s9
	s_mul_i32 s8, s3, s9
	s_add_co_u32 s9, s14, s18
	s_add_co_ci_u32 s16, s15, s0
	s_add_co_ci_u32 s9, s19, 0
	s_delay_alu instid0(SALU_CYCLE_1) | instskip(NEXT) | instid1(SALU_CYCLE_1)
	s_add_nc_u64 s[8:9], s[16:17], s[8:9]
	s_add_co_u32 s0, s2, s8
	s_cselect_b32 s2, -1, 0
	v_nop
	v_mul_hi_u32 v14, v4, s0
	s_cmp_lg_u32 s2, 0
	s_add_co_ci_u32 s16, s3, s9
	s_mov_b64 s[2:3], 0xffffffff
	v_mul_u64_e32 v[8:9], s[16:17], v[8:9]
	s_and_b64 s[2:3], s[0:1], s[2:3]
	s_delay_alu instid0(SALU_CYCLE_1) | instskip(SKIP_1) | instid1(VALU_DEP_3)
	v_mul_u64_e32 v[12:13], s[2:3], v[10:11]
	v_mul_u64_e32 v[10:11], s[16:17], v[10:11]
	v_add_nc_u64_e32 v[8:9], v[14:15], v[8:9]
	s_delay_alu instid0(VALU_DEP_1) | instskip(NEXT) | instid1(VALU_DEP_2)
	v_add_co_u32 v6, vcc_lo, v8, v12
	v_add_co_ci_u32_e32 v6, vcc_lo, v9, v13, vcc_lo
	s_delay_alu instid0(VALU_DEP_4) | instskip(NEXT) | instid1(VALU_DEP_1)
	v_add_co_ci_u32_e32 v11, vcc_lo, 0, v11, vcc_lo
	v_add_nc_u64_e32 v[6:7], v[6:7], v[10:11]
	s_delay_alu instid0(VALU_DEP_1) | instskip(NEXT) | instid1(VALU_DEP_1)
	v_mul_u64_e32 v[8:9], s[10:11], v[6:7]
	v_sub_nc_u32_e32 v10, v5, v9
	s_delay_alu instid0(VALU_DEP_2) | instskip(NEXT) | instid1(VALU_DEP_1)
	v_sub_co_u32 v8, vcc_lo, v4, v8
	v_sub_co_ci_u32_e64 v15, null, v5, v9, vcc_lo
	s_delay_alu instid0(VALU_DEP_3) | instskip(NEXT) | instid1(VALU_DEP_3)
	v_subrev_co_ci_u32_e64 v10, null, s11, v10, vcc_lo
	v_sub_co_u32 v12, s0, v8, s10
	v_cmp_le_u32_e32 vcc_lo, s10, v8
	s_delay_alu instid0(VALU_DEP_3) | instskip(NEXT) | instid1(VALU_DEP_3)
	v_subrev_co_ci_u32_e64 v13, null, 0, v10, s0
	v_cmp_le_u32_e64 s0, s10, v12
	v_add_nc_u64_e32 v[10:11], 2, v[6:7]
	v_cndmask_b32_e64 v16, 0, -1, vcc_lo
	s_delay_alu instid0(VALU_DEP_4) | instskip(SKIP_3) | instid1(VALU_DEP_1)
	v_cmp_eq_u32_e32 vcc_lo, s11, v13
	v_add_nc_u64_e32 v[8:9], 1, v[6:7]
	v_cndmask_b32_e64 v12, 0, -1, s0
	v_cmp_le_u32_e64 s0, s11, v13
	v_cndmask_b32_e64 v14, 0, -1, s0
	v_cmp_eq_u32_e64 s0, s11, v15
	s_delay_alu instid0(VALU_DEP_2) | instskip(SKIP_2) | instid1(VALU_DEP_3)
	v_cndmask_b32_e32 v12, v14, v12, vcc_lo
	v_cmp_le_u32_e32 vcc_lo, s11, v15
	v_cndmask_b32_e64 v13, 0, -1, vcc_lo
	v_cmp_ne_u32_e32 vcc_lo, 0, v12
	s_delay_alu instid0(VALU_DEP_2) | instskip(SKIP_1) | instid1(VALU_DEP_2)
	v_dual_cndmask_b32 v12, v13, v16, s0 :: v_dual_cndmask_b32 v8, v8, v10, vcc_lo
	v_cndmask_b32_e32 v9, v9, v11, vcc_lo
	v_cmp_ne_u32_e32 vcc_lo, 0, v12
	s_delay_alu instid0(VALU_DEP_2)
	v_dual_cndmask_b32 v8, v6, v8 :: v_dual_cndmask_b32 v9, v7, v9
.LBB4_7:
	s_and_not1_saveexec_b32 s0, s1
	s_cbranch_execz .LBB4_9
; %bb.8:
	v_cvt_f32_u32_e32 v6, s10
	s_sub_co_i32 s1, 0, s10
	s_delay_alu instid0(VALU_DEP_1) | instskip(SKIP_1) | instid1(TRANS32_DEP_1)
	v_rcp_iflag_f32_e32 v6, v6
	v_nop
	v_mul_f32_e32 v6, 0x4f7ffffe, v6
	s_delay_alu instid0(VALU_DEP_1) | instskip(NEXT) | instid1(VALU_DEP_1)
	v_cvt_u32_f32_e32 v6, v6
	v_mul_lo_u32 v7, s1, v6
	s_delay_alu instid0(VALU_DEP_1) | instskip(NEXT) | instid1(VALU_DEP_1)
	v_mul_hi_u32 v7, v6, v7
	v_add_nc_u32_e32 v6, v6, v7
	s_delay_alu instid0(VALU_DEP_1) | instskip(NEXT) | instid1(VALU_DEP_1)
	v_mul_hi_u32 v6, v4, v6
	v_mul_lo_u32 v7, v6, s10
	s_delay_alu instid0(VALU_DEP_1) | instskip(NEXT) | instid1(VALU_DEP_1)
	v_dual_add_nc_u32 v8, 1, v6 :: v_dual_sub_nc_u32 v7, v4, v7
	v_subrev_nc_u32_e32 v9, s10, v7
	v_cmp_le_u32_e32 vcc_lo, s10, v7
	s_delay_alu instid0(VALU_DEP_2) | instskip(NEXT) | instid1(VALU_DEP_4)
	v_dual_cndmask_b32 v7, v7, v9, vcc_lo :: v_dual_mov_b32 v9, 0
	v_cndmask_b32_e32 v6, v6, v8, vcc_lo
	s_delay_alu instid0(VALU_DEP_2) | instskip(NEXT) | instid1(VALU_DEP_2)
	v_cmp_le_u32_e32 vcc_lo, s10, v7
	v_add_nc_u32_e32 v8, 1, v6
	s_delay_alu instid0(VALU_DEP_1)
	v_cndmask_b32_e32 v8, v6, v8, vcc_lo
.LBB4_9:
	s_or_b32 exec_lo, exec_lo, s0
	s_delay_alu instid0(VALU_DEP_1) | instskip(SKIP_1) | instid1(VALU_DEP_1)
	v_mul_u64_e32 v[6:7], s[10:11], v[8:9]
	v_mad_nc_u64_u32 v[8:9], v2, s6, v[8:9]
	v_mad_u32 v3, v3, s6, v9
	s_delay_alu instid0(VALU_DEP_1) | instskip(NEXT) | instid1(VALU_DEP_4)
	v_mad_u32 v2, v2, s7, v3
	v_sub_nc_u64_e32 v[4:5], v[4:5], v[6:7]
	s_delay_alu instid0(VALU_DEP_1) | instskip(NEXT) | instid1(VALU_DEP_1)
	v_mad_nc_u64_u32 v[4:5], v8, s4, v[4:5]
	v_mad_u32 v2, v2, s4, v5
	s_delay_alu instid0(VALU_DEP_2) | instskip(NEXT) | instid1(VALU_DEP_2)
	v_cvt_f64_u32_e32 v[6:7], v4
	v_mad_u32 v5, v8, s5, v2
                                        ; implicit-def: $vgpr8
	s_delay_alu instid0(VALU_DEP_1) | instskip(SKIP_1) | instid1(VALU_DEP_2)
	v_cvt_f64_u32_e32 v[2:3], v5
	v_cmp_lt_u64_e32 vcc_lo, 0x3fffffff, v[4:5]
                                        ; implicit-def: $vgpr4_vgpr5
	v_ldexp_f64 v[2:3], v[2:3], 32
	s_delay_alu instid0(VALU_DEP_1) | instskip(SKIP_1) | instid1(SALU_CYCLE_1)
	v_add_f64_e32 v[2:3], v[2:3], v[6:7]
                                        ; implicit-def: $vgpr6_vgpr7
	s_and_saveexec_b32 s0, vcc_lo
	s_xor_b32 s0, exec_lo, s0
	s_cbranch_execz .LBB4_11
; %bb.10:
	s_delay_alu instid0(VALU_DEP_1) | instskip(SKIP_3) | instid1(VALU_DEP_3)
	v_trig_preop_f64 v[4:5], v[2:3], 0
	v_trig_preop_f64 v[6:7], v[2:3], 1
	;; [unrolled: 1-line block ×3, first 2 shown]
	s_mov_b64 s[2:3], 0x3ff921fb54442d18
	v_dual_mul_f64 v[8:9], v[4:5], v[2:3] :: v_dual_mov_b32 v24, 0
	s_delay_alu instid0(VALU_DEP_3) | instskip(NEXT) | instid1(VALU_DEP_3)
	v_mul_f64_e32 v[10:11], v[6:7], v[2:3]
	v_mul_f64_e32 v[22:23], v[16:17], v[2:3]
	s_delay_alu instid0(VALU_DEP_3) | instskip(NEXT) | instid1(VALU_DEP_3)
	v_fma_f64 v[4:5], v[4:5], v[2:3], -v[8:9]
	v_fma_f64 v[6:7], v[6:7], v[2:3], -v[10:11]
	s_delay_alu instid0(VALU_DEP_3) | instskip(NEXT) | instid1(VALU_DEP_3)
	v_fma_f64 v[2:3], v[16:17], v[2:3], -v[22:23]
	v_add_f64_e32 v[12:13], v[10:11], v[4:5]
	s_delay_alu instid0(VALU_DEP_1) | instskip(SKIP_1) | instid1(VALU_DEP_2)
	v_add_f64_e64 v[14:15], v[12:13], -v[10:11]
	v_add_f64_e32 v[20:21], v[8:9], v[12:13]
	v_add_f64_e64 v[18:19], v[12:13], -v[14:15]
	v_add_f64_e64 v[4:5], v[4:5], -v[14:15]
	s_delay_alu instid0(VALU_DEP_3) | instskip(NEXT) | instid1(VALU_DEP_3)
	v_ldexp_f64 v[14:15], v[20:21], -2
	v_add_f64_e64 v[10:11], v[10:11], -v[18:19]
	v_add_f64_e32 v[18:19], v[22:23], v[6:7]
	s_delay_alu instid0(VALU_DEP_3) | instskip(NEXT) | instid1(VALU_DEP_3)
	v_cmp_neq_f64_e64 vcc_lo, 0x7ff00000, |v[14:15]|
	v_add_f64_e32 v[4:5], v[4:5], v[10:11]
	v_fract_f64_e32 v[10:11], v[14:15]
	s_delay_alu instid0(VALU_DEP_1) | instskip(NEXT) | instid1(VALU_DEP_1)
	v_ldexp_f64 v[10:11], v[10:11], 2
	v_dual_add_f64 v[8:9], v[20:21], -v[8:9] :: v_dual_cndmask_b32 v10, 0, v10, vcc_lo
	s_delay_alu instid0(VALU_DEP_1) | instskip(SKIP_1) | instid1(VALU_DEP_1)
	v_dual_add_f64 v[8:9], v[12:13], -v[8:9] :: v_dual_cndmask_b32 v11, 0, v11, vcc_lo
	v_add_f64_e32 v[12:13], v[18:19], v[4:5]
	v_add_f64_e32 v[14:15], v[8:9], v[12:13]
	v_add_f64_e64 v[26:27], v[12:13], -v[18:19]
	s_delay_alu instid0(VALU_DEP_2) | instskip(NEXT) | instid1(VALU_DEP_2)
	v_add_f64_e32 v[20:21], v[14:15], v[10:11]
	v_add_f64_e64 v[32:33], v[12:13], -v[26:27]
	v_add_f64_e64 v[4:5], v[4:5], -v[26:27]
	;; [unrolled: 1-line block ×3, first 2 shown]
	s_delay_alu instid0(VALU_DEP_4) | instskip(SKIP_1) | instid1(VALU_DEP_3)
	v_cmp_gt_f64_e32 vcc_lo, 0, v[20:21]
	v_add_f64_e64 v[20:21], v[18:19], -v[22:23]
	v_add_f64_e64 v[8:9], v[12:13], -v[8:9]
	v_cndmask_b32_e64 v25, 0, 0x40100000, vcc_lo
	s_delay_alu instid0(VALU_DEP_3) | instskip(SKIP_2) | instid1(VALU_DEP_4)
	v_add_f64_e64 v[30:31], v[18:19], -v[20:21]
	v_add_f64_e64 v[6:7], v[6:7], -v[20:21]
	;; [unrolled: 1-line block ×3, first 2 shown]
	v_add_f64_e32 v[10:11], v[10:11], v[24:25]
	s_delay_alu instid0(VALU_DEP_4) | instskip(NEXT) | instid1(VALU_DEP_3)
	v_add_f64_e64 v[20:21], v[22:23], -v[30:31]
	v_add_f64_e32 v[4:5], v[4:5], v[18:19]
	s_delay_alu instid0(VALU_DEP_3) | instskip(NEXT) | instid1(VALU_DEP_3)
	v_add_f64_e32 v[28:29], v[14:15], v[10:11]
	v_add_f64_e32 v[6:7], v[6:7], v[20:21]
	s_delay_alu instid0(VALU_DEP_2) | instskip(NEXT) | instid1(VALU_DEP_2)
	v_cvt_i32_f64_e32 v25, v[28:29]
	v_add_f64_e32 v[4:5], v[6:7], v[4:5]
	s_delay_alu instid0(VALU_DEP_2) | instskip(NEXT) | instid1(VALU_DEP_2)
	v_cvt_f64_i32_e32 v[26:27], v25
	v_add_f64_e32 v[2:3], v[2:3], v[4:5]
	s_delay_alu instid0(VALU_DEP_2) | instskip(NEXT) | instid1(VALU_DEP_2)
	v_add_f64_e64 v[10:11], v[10:11], -v[26:27]
	v_add_f64_e32 v[2:3], v[8:9], v[2:3]
	s_delay_alu instid0(VALU_DEP_2) | instskip(NEXT) | instid1(VALU_DEP_1)
	v_add_f64_e32 v[6:7], v[14:15], v[10:11]
	v_add_f64_e64 v[4:5], v[6:7], -v[10:11]
	v_cmp_le_f64_e32 vcc_lo, 0.5, v[6:7]
	s_delay_alu instid0(VALU_DEP_2) | instskip(SKIP_2) | instid1(VALU_DEP_3)
	v_add_f64_e64 v[4:5], v[14:15], -v[4:5]
	v_add_co_ci_u32_e64 v8, null, 0, v25, vcc_lo
	v_cndmask_b32_e64 v25, 0, 0x3ff00000, vcc_lo
	v_add_f64_e32 v[2:3], v[2:3], v[4:5]
	s_delay_alu instid0(VALU_DEP_2) | instskip(NEXT) | instid1(VALU_DEP_1)
	v_add_f64_e64 v[4:5], v[6:7], -v[24:25]
	v_add_f64_e32 v[6:7], v[4:5], v[2:3]
	s_delay_alu instid0(VALU_DEP_1) | instskip(SKIP_1) | instid1(VALU_DEP_2)
	v_mul_f64_e32 v[10:11], 0x3ff921fb54442d18, v[6:7]
	v_add_f64_e64 v[4:5], v[6:7], -v[4:5]
	v_fma_f64 v[12:13], v[6:7], s[2:3], -v[10:11]
	s_delay_alu instid0(VALU_DEP_2) | instskip(NEXT) | instid1(VALU_DEP_2)
	v_add_f64_e64 v[2:3], v[2:3], -v[4:5]
	v_fmamk_f64 v[6:7], v[6:7], 0x3c91a62633145c07, v[12:13]
	s_delay_alu instid0(VALU_DEP_1) | instskip(NEXT) | instid1(VALU_DEP_1)
	v_fmac_f64_e32 v[6:7], 0x3ff921fb54442d18, v[2:3]
	v_add_f64_e32 v[4:5], v[10:11], v[6:7]
	s_delay_alu instid0(VALU_DEP_1) | instskip(NEXT) | instid1(VALU_DEP_1)
	v_add_f64_e64 v[2:3], v[4:5], -v[10:11]
	v_add_f64_e64 v[6:7], v[6:7], -v[2:3]
                                        ; implicit-def: $vgpr2_vgpr3
.LBB4_11:
	s_and_not1_saveexec_b32 s0, s0
	s_cbranch_execz .LBB4_13
; %bb.12:
	s_delay_alu instid0(VALU_DEP_1) | instskip(NEXT) | instid1(VALU_DEP_1)
	v_mul_f64_e32 v[4:5], 0x3fe45f306dc9c883, v[2:3]
	v_rndne_f64_e32 v[8:9], v[4:5]
	s_delay_alu instid0(VALU_DEP_1) | instskip(SKIP_1) | instid1(VALU_DEP_1)
	v_mul_f64_e32 v[4:5], 0xbc91a62633145c00, v[8:9]
	v_fmamk_f64 v[2:3], v[8:9], 0xbff921fb54442d18, v[2:3]
	v_add_f64_e32 v[6:7], v[2:3], v[4:5]
	s_delay_alu instid0(VALU_DEP_1) | instskip(SKIP_1) | instid1(VALU_DEP_1)
	v_add_f64_e64 v[10:11], v[2:3], -v[6:7]
	v_fmamk_f64 v[2:3], v[8:9], 0xbc91a62633145c00, v[2:3]
	v_add_f64_e64 v[6:7], v[6:7], -v[2:3]
	s_delay_alu instid0(VALU_DEP_3) | instskip(SKIP_1) | instid1(VALU_DEP_2)
	v_add_f64_e32 v[10:11], v[10:11], v[4:5]
	v_fmamk_f64 v[4:5], v[8:9], 0x3c91a62633145c00, v[4:5]
	v_add_f64_e32 v[6:7], v[6:7], v[10:11]
	s_delay_alu instid0(VALU_DEP_1) | instskip(NEXT) | instid1(VALU_DEP_1)
	v_add_f64_e64 v[4:5], v[6:7], -v[4:5]
	v_fmamk_f64 v[6:7], v[8:9], 0xb97b839a252049c0, v[4:5]
	v_cvt_i32_f64_e32 v8, v[8:9]
	s_delay_alu instid0(VALU_DEP_2) | instskip(NEXT) | instid1(VALU_DEP_1)
	v_add_f64_e32 v[4:5], v[2:3], v[6:7]
	v_add_f64_e64 v[2:3], v[4:5], -v[2:3]
	s_delay_alu instid0(VALU_DEP_1)
	v_add_f64_e64 v[6:7], v[6:7], -v[2:3]
.LBB4_13:
	s_or_b32 exec_lo, exec_lo, s0
	v_mul_f64_e32 v[2:3], v[4:5], v[4:5]
	s_delay_alu instid0(VALU_DEP_2) | instskip(SKIP_2) | instid1(VALU_DEP_3)
	v_mul_f64_e32 v[16:17], 0.5, v[6:7]
	s_mov_b64 s[0:1], 0x3de5e0b2f9a43bb8
	v_lshl_add_u64 v[0:1], v[0:1], 2, s[12:13]
	v_mul_f64_e32 v[10:11], 0.5, v[2:3]
	v_mul_f64_e64 v[18:19], v[4:5], -v[2:3]
	v_fmaak_f64 v[20:21], s[0:1], v[2:3], 0xbe5ae600b42fdfa7
	s_mov_b64 s[0:1], 0xbda907db46cc5e42
	s_delay_alu instid0(VALU_DEP_1) | instskip(NEXT) | instid1(VALU_DEP_4)
	v_fmaak_f64 v[20:21], v[2:3], v[20:21], 0x3ec71de3796cde01
	v_add_f64_e64 v[12:13], -v[10:11], 1.0
	s_delay_alu instid0(VALU_DEP_1) | instskip(NEXT) | instid1(VALU_DEP_1)
	v_add_f64_e64 v[14:15], -v[12:13], 1.0
	v_add_f64_e64 v[10:11], v[14:15], -v[10:11]
	s_delay_alu instid0(VALU_DEP_4) | instskip(SKIP_1) | instid1(VALU_DEP_2)
	v_fmaak_f64 v[14:15], v[2:3], v[20:21], 0xbf2a01a019e83e5c
	v_mul_f64_e32 v[20:21], v[2:3], v[2:3]
	v_fmaak_f64 v[14:15], v[2:3], v[14:15], 0x3f81111111110bb3
	s_delay_alu instid0(VALU_DEP_1) | instskip(SKIP_1) | instid1(VALU_DEP_1)
	v_fmac_f64_e32 v[16:17], v[18:19], v[14:15]
	v_fmaak_f64 v[14:15], s[0:1], v[2:3], 0x3e21eeb69037ab78
	v_fmaak_f64 v[14:15], v[2:3], v[14:15], 0xbe927e4fa17f65f6
	s_delay_alu instid0(VALU_DEP_1) | instskip(SKIP_1) | instid1(VALU_DEP_2)
	v_fmaak_f64 v[14:15], v[2:3], v[14:15], 0x3efa01a019f4ec90
	v_fma_f64 v[10:11], v[4:5], -v[6:7], v[10:11]
	v_fmaak_f64 v[14:15], v[2:3], v[14:15], 0xbf56c16c16c16967
	v_fma_f64 v[6:7], v[2:3], v[16:17], -v[6:7]
	s_delay_alu instid0(VALU_DEP_2) | instskip(NEXT) | instid1(VALU_DEP_1)
	v_fmaak_f64 v[2:3], v[2:3], v[14:15], 0x3fa5555555555555
	v_fmac_f64_e32 v[10:11], v[20:21], v[2:3]
	s_delay_alu instid0(VALU_DEP_3) | instskip(SKIP_1) | instid1(VALU_DEP_1)
	v_fmamk_f64 v[2:3], v[18:19], 0xbfc5555555555555, v[6:7]
	v_and_b32_e32 v6, 1, v8
	v_cmp_eq_u32_e32 vcc_lo, 0, v6
	s_delay_alu instid0(VALU_DEP_3) | instskip(SKIP_1) | instid1(VALU_DEP_2)
	v_add_f64_e64 v[2:3], v[4:5], -v[2:3]
	v_add_f64_e32 v[4:5], v[12:13], v[10:11]
	v_xor_b32_e32 v3, 0x80000000, v3
	s_delay_alu instid0(VALU_DEP_1) | instskip(SKIP_1) | instid1(VALU_DEP_1)
	v_dual_cndmask_b32 v2, v2, v4 :: v_dual_cndmask_b32 v3, v3, v5
	v_lshlrev_b32_e32 v4, 30, v8
	v_bitop3_b32 v3, v3, v4, 0x80000000 bitop3:0x78
	s_delay_alu instid0(VALU_DEP_1)
	v_cvt_f32_f64_e32 v2, v[2:3]
	global_store_b32 v[0:1], v2, off
.LBB4_14:
	s_endpgm
	.section	.rodata,"a",@progbits
	.p2align	6, 0x0
	.amdhsa_kernel _Z11fill_kernelIfZ21hipblaslt_init_deviceIfEv8ABC_dims24hipblaslt_initializationbPT_mmmmmEUlmE3_EvS4_mmT0_
		.amdhsa_group_segment_fixed_size 0
		.amdhsa_private_segment_fixed_size 0
		.amdhsa_kernarg_size 312
		.amdhsa_user_sgpr_count 2
		.amdhsa_user_sgpr_dispatch_ptr 0
		.amdhsa_user_sgpr_queue_ptr 0
		.amdhsa_user_sgpr_kernarg_segment_ptr 1
		.amdhsa_user_sgpr_dispatch_id 0
		.amdhsa_user_sgpr_kernarg_preload_length 0
		.amdhsa_user_sgpr_kernarg_preload_offset 0
		.amdhsa_user_sgpr_private_segment_size 0
		.amdhsa_wavefront_size32 1
		.amdhsa_uses_dynamic_stack 0
		.amdhsa_enable_private_segment 0
		.amdhsa_system_sgpr_workgroup_id_x 1
		.amdhsa_system_sgpr_workgroup_id_y 0
		.amdhsa_system_sgpr_workgroup_id_z 0
		.amdhsa_system_sgpr_workgroup_info 0
		.amdhsa_system_vgpr_workitem_id 0
		.amdhsa_next_free_vgpr 34
		.amdhsa_next_free_sgpr 24
		.amdhsa_named_barrier_count 0
		.amdhsa_reserve_vcc 1
		.amdhsa_float_round_mode_32 0
		.amdhsa_float_round_mode_16_64 0
		.amdhsa_float_denorm_mode_32 3
		.amdhsa_float_denorm_mode_16_64 3
		.amdhsa_fp16_overflow 0
		.amdhsa_memory_ordered 1
		.amdhsa_forward_progress 1
		.amdhsa_inst_pref_size 22
		.amdhsa_round_robin_scheduling 0
		.amdhsa_exception_fp_ieee_invalid_op 0
		.amdhsa_exception_fp_denorm_src 0
		.amdhsa_exception_fp_ieee_div_zero 0
		.amdhsa_exception_fp_ieee_overflow 0
		.amdhsa_exception_fp_ieee_underflow 0
		.amdhsa_exception_fp_ieee_inexact 0
		.amdhsa_exception_int_div_zero 0
	.end_amdhsa_kernel
	.section	.text._Z11fill_kernelIfZ21hipblaslt_init_deviceIfEv8ABC_dims24hipblaslt_initializationbPT_mmmmmEUlmE3_EvS4_mmT0_,"axG",@progbits,_Z11fill_kernelIfZ21hipblaslt_init_deviceIfEv8ABC_dims24hipblaslt_initializationbPT_mmmmmEUlmE3_EvS4_mmT0_,comdat
.Lfunc_end4:
	.size	_Z11fill_kernelIfZ21hipblaslt_init_deviceIfEv8ABC_dims24hipblaslt_initializationbPT_mmmmmEUlmE3_EvS4_mmT0_, .Lfunc_end4-_Z11fill_kernelIfZ21hipblaslt_init_deviceIfEv8ABC_dims24hipblaslt_initializationbPT_mmmmmEUlmE3_EvS4_mmT0_
                                        ; -- End function
	.set _Z11fill_kernelIfZ21hipblaslt_init_deviceIfEv8ABC_dims24hipblaslt_initializationbPT_mmmmmEUlmE3_EvS4_mmT0_.num_vgpr, 34
	.set _Z11fill_kernelIfZ21hipblaslt_init_deviceIfEv8ABC_dims24hipblaslt_initializationbPT_mmmmmEUlmE3_EvS4_mmT0_.num_agpr, 0
	.set _Z11fill_kernelIfZ21hipblaslt_init_deviceIfEv8ABC_dims24hipblaslt_initializationbPT_mmmmmEUlmE3_EvS4_mmT0_.numbered_sgpr, 24
	.set _Z11fill_kernelIfZ21hipblaslt_init_deviceIfEv8ABC_dims24hipblaslt_initializationbPT_mmmmmEUlmE3_EvS4_mmT0_.num_named_barrier, 0
	.set _Z11fill_kernelIfZ21hipblaslt_init_deviceIfEv8ABC_dims24hipblaslt_initializationbPT_mmmmmEUlmE3_EvS4_mmT0_.private_seg_size, 0
	.set _Z11fill_kernelIfZ21hipblaslt_init_deviceIfEv8ABC_dims24hipblaslt_initializationbPT_mmmmmEUlmE3_EvS4_mmT0_.uses_vcc, 1
	.set _Z11fill_kernelIfZ21hipblaslt_init_deviceIfEv8ABC_dims24hipblaslt_initializationbPT_mmmmmEUlmE3_EvS4_mmT0_.uses_flat_scratch, 0
	.set _Z11fill_kernelIfZ21hipblaslt_init_deviceIfEv8ABC_dims24hipblaslt_initializationbPT_mmmmmEUlmE3_EvS4_mmT0_.has_dyn_sized_stack, 0
	.set _Z11fill_kernelIfZ21hipblaslt_init_deviceIfEv8ABC_dims24hipblaslt_initializationbPT_mmmmmEUlmE3_EvS4_mmT0_.has_recursion, 0
	.set _Z11fill_kernelIfZ21hipblaslt_init_deviceIfEv8ABC_dims24hipblaslt_initializationbPT_mmmmmEUlmE3_EvS4_mmT0_.has_indirect_call, 0
	.section	.AMDGPU.csdata,"",@progbits
; Kernel info:
; codeLenInByte = 2752
; TotalNumSgprs: 26
; NumVgprs: 34
; ScratchSize: 0
; MemoryBound: 0
; FloatMode: 240
; IeeeMode: 1
; LDSByteSize: 0 bytes/workgroup (compile time only)
; SGPRBlocks: 0
; VGPRBlocks: 2
; NumSGPRsForWavesPerEU: 26
; NumVGPRsForWavesPerEU: 34
; NamedBarCnt: 0
; Occupancy: 16
; WaveLimiterHint : 0
; COMPUTE_PGM_RSRC2:SCRATCH_EN: 0
; COMPUTE_PGM_RSRC2:USER_SGPR: 2
; COMPUTE_PGM_RSRC2:TRAP_HANDLER: 0
; COMPUTE_PGM_RSRC2:TGID_X_EN: 1
; COMPUTE_PGM_RSRC2:TGID_Y_EN: 0
; COMPUTE_PGM_RSRC2:TGID_Z_EN: 0
; COMPUTE_PGM_RSRC2:TIDIG_COMP_CNT: 0
	.section	.text._Z11fill_kernelIfZ21hipblaslt_init_deviceIfEv8ABC_dims24hipblaslt_initializationbPT_mmmmmEUlmE4_EvS4_mmT0_,"axG",@progbits,_Z11fill_kernelIfZ21hipblaslt_init_deviceIfEv8ABC_dims24hipblaslt_initializationbPT_mmmmmEUlmE4_EvS4_mmT0_,comdat
	.protected	_Z11fill_kernelIfZ21hipblaslt_init_deviceIfEv8ABC_dims24hipblaslt_initializationbPT_mmmmmEUlmE4_EvS4_mmT0_ ; -- Begin function _Z11fill_kernelIfZ21hipblaslt_init_deviceIfEv8ABC_dims24hipblaslt_initializationbPT_mmmmmEUlmE4_EvS4_mmT0_
	.globl	_Z11fill_kernelIfZ21hipblaslt_init_deviceIfEv8ABC_dims24hipblaslt_initializationbPT_mmmmmEUlmE4_EvS4_mmT0_
	.p2align	8
	.type	_Z11fill_kernelIfZ21hipblaslt_init_deviceIfEv8ABC_dims24hipblaslt_initializationbPT_mmmmmEUlmE4_EvS4_mmT0_,@function
_Z11fill_kernelIfZ21hipblaslt_init_deviceIfEv8ABC_dims24hipblaslt_initializationbPT_mmmmmEUlmE4_EvS4_mmT0_: ; @_Z11fill_kernelIfZ21hipblaslt_init_deviceIfEv8ABC_dims24hipblaslt_initializationbPT_mmmmmEUlmE4_EvS4_mmT0_
; %bb.0:
	s_clause 0x1
	s_load_b32 s2, s[0:1], 0x2c
	s_load_b128 s[4:7], s[0:1], 0x0
	s_bfe_u32 s3, ttmp6, 0x4000c
	s_and_b32 s8, ttmp6, 15
	s_add_co_i32 s3, s3, 1
	s_getreg_b32 s9, hwreg(HW_REG_IB_STS2, 6, 4)
	s_mul_i32 s3, ttmp9, s3
	v_mov_b32_e32 v1, 0
	s_add_co_i32 s8, s8, s3
	s_wait_kmcnt 0x0
	s_and_b32 s2, s2, 0xffff
	s_cmp_eq_u32 s9, 0
	s_cselect_b32 s3, ttmp9, s8
	s_delay_alu instid0(SALU_CYCLE_1) | instskip(SKIP_1) | instid1(VALU_DEP_1)
	v_mad_u32 v0, s3, s2, v0
	s_mov_b32 s2, exec_lo
	v_cmpx_gt_u64_e64 s[6:7], v[0:1]
	s_cbranch_execz .LBB5_2
; %bb.1:
	s_load_b64 s[0:1], s[0:1], 0x10
	s_wait_kmcnt 0x0
	v_add_nc_u64_e32 v[0:1], s[0:1], v[0:1]
	s_mov_b32 s0, 0x19660d
	s_delay_alu instid0(VALU_DEP_1) | instid1(SALU_CYCLE_1)
	v_mad_nc_u64_u32 v[2:3], v0, s0, 0x3c6ef35f
	s_mov_b64 s[0:1], 0x41efffffffe00000
	s_delay_alu instid0(VALU_DEP_1) | instskip(SKIP_1) | instid1(VALU_DEP_2)
	v_mad_u32 v3, 0x19660d, v1, v3
	v_lshl_add_u64 v[0:1], v[0:1], 2, s[4:5]
	v_lshlrev_b64_e32 v[4:5], 13, v[2:3]
	s_delay_alu instid0(VALU_DEP_1) | instskip(NEXT) | instid1(VALU_DEP_2)
	v_xor_b32_e32 v3, v5, v3
	v_xor_b32_e32 v2, v4, v2
	s_delay_alu instid0(VALU_DEP_1) | instskip(NEXT) | instid1(VALU_DEP_1)
	v_lshrrev_b64 v[4:5], 17, v[2:3]
	v_xor_b32_e32 v3, v5, v3
	s_delay_alu instid0(VALU_DEP_2) | instskip(NEXT) | instid1(VALU_DEP_1)
	v_xor_b32_e32 v2, v4, v2
	v_lshlrev_b64_e32 v[4:5], 5, v[2:3]
	s_delay_alu instid0(VALU_DEP_1) | instskip(NEXT) | instid1(VALU_DEP_2)
	v_xor_b32_e32 v3, v5, v3
	v_xor_b32_e32 v2, v4, v2
	s_delay_alu instid0(VALU_DEP_1) | instskip(NEXT) | instid1(VALU_DEP_1)
	v_lshlrev_b64_e32 v[4:5], 13, v[2:3]
	v_xor_b32_e32 v3, v5, v3
	s_delay_alu instid0(VALU_DEP_2) | instskip(NEXT) | instid1(VALU_DEP_1)
	v_xor_b32_e32 v2, v4, v2
	v_lshrrev_b64 v[4:5], 17, v[2:3]
	s_delay_alu instid0(VALU_DEP_1) | instskip(NEXT) | instid1(VALU_DEP_2)
	v_xor_b32_e32 v3, v5, v3
	v_xor_b32_e32 v2, v4, v2
	s_delay_alu instid0(VALU_DEP_1) | instskip(NEXT) | instid1(VALU_DEP_1)
	v_lshlrev_b64_e32 v[4:5], 5, v[2:3]
	v_xor_b32_e32 v3, v5, v3
	s_delay_alu instid0(VALU_DEP_2) | instskip(NEXT) | instid1(VALU_DEP_1)
	v_xor_b32_e32 v2, v4, v2
	v_lshlrev_b64_e32 v[4:5], 13, v[2:3]
	s_delay_alu instid0(VALU_DEP_1) | instskip(NEXT) | instid1(VALU_DEP_2)
	v_xor_b32_e32 v3, v5, v3
	v_xor_b32_e32 v2, v4, v2
	s_delay_alu instid0(VALU_DEP_1) | instskip(NEXT) | instid1(VALU_DEP_1)
	v_alignbit_b32 v3, v3, v2, 17
	v_xor_b32_e32 v2, v3, v2
	s_delay_alu instid0(VALU_DEP_1) | instskip(NEXT) | instid1(VALU_DEP_1)
	v_lshlrev_b32_e32 v3, 5, v2
	v_xor_b32_e32 v2, v3, v2
	s_delay_alu instid0(VALU_DEP_1) | instskip(NEXT) | instid1(VALU_DEP_1)
	v_cvt_f64_u32_e32 v[2:3], v2
	v_div_scale_f64 v[4:5], null, s[0:1], s[0:1], v[2:3]
	s_delay_alu instid0(VALU_DEP_1) | instskip(SKIP_1) | instid1(TRANS32_DEP_1)
	v_rcp_f64_e32 v[6:7], v[4:5]
	v_nop
	v_fma_f64 v[8:9], -v[4:5], v[6:7], 1.0
	s_delay_alu instid0(VALU_DEP_1) | instskip(NEXT) | instid1(VALU_DEP_1)
	v_fmac_f64_e32 v[6:7], v[6:7], v[8:9]
	v_fma_f64 v[8:9], -v[4:5], v[6:7], 1.0
	s_delay_alu instid0(VALU_DEP_1) | instskip(SKIP_1) | instid1(VALU_DEP_1)
	v_fmac_f64_e32 v[6:7], v[6:7], v[8:9]
	v_div_scale_f64 v[8:9], vcc_lo, v[2:3], s[0:1], v[2:3]
	v_mul_f64_e32 v[10:11], v[8:9], v[6:7]
	s_delay_alu instid0(VALU_DEP_1) | instskip(NEXT) | instid1(VALU_DEP_1)
	v_fma_f64 v[4:5], -v[4:5], v[10:11], v[8:9]
	v_div_fmas_f64 v[4:5], v[4:5], v[6:7], v[10:11]
	s_delay_alu instid0(VALU_DEP_1) | instskip(NEXT) | instid1(VALU_DEP_1)
	v_div_fixup_f64 v[2:3], v[4:5], s[0:1], v[2:3]
	v_add_f64_e32 v[2:3], -0.5, v[2:3]
	s_delay_alu instid0(VALU_DEP_1)
	v_cvt_f32_f64_e32 v2, v[2:3]
	global_store_b32 v[0:1], v2, off
.LBB5_2:
	s_endpgm
	.section	.rodata,"a",@progbits
	.p2align	6, 0x0
	.amdhsa_kernel _Z11fill_kernelIfZ21hipblaslt_init_deviceIfEv8ABC_dims24hipblaslt_initializationbPT_mmmmmEUlmE4_EvS4_mmT0_
		.amdhsa_group_segment_fixed_size 0
		.amdhsa_private_segment_fixed_size 0
		.amdhsa_kernarg_size 288
		.amdhsa_user_sgpr_count 2
		.amdhsa_user_sgpr_dispatch_ptr 0
		.amdhsa_user_sgpr_queue_ptr 0
		.amdhsa_user_sgpr_kernarg_segment_ptr 1
		.amdhsa_user_sgpr_dispatch_id 0
		.amdhsa_user_sgpr_kernarg_preload_length 0
		.amdhsa_user_sgpr_kernarg_preload_offset 0
		.amdhsa_user_sgpr_private_segment_size 0
		.amdhsa_wavefront_size32 1
		.amdhsa_uses_dynamic_stack 0
		.amdhsa_enable_private_segment 0
		.amdhsa_system_sgpr_workgroup_id_x 1
		.amdhsa_system_sgpr_workgroup_id_y 0
		.amdhsa_system_sgpr_workgroup_id_z 0
		.amdhsa_system_sgpr_workgroup_info 0
		.amdhsa_system_vgpr_workitem_id 0
		.amdhsa_next_free_vgpr 12
		.amdhsa_next_free_sgpr 10
		.amdhsa_named_barrier_count 0
		.amdhsa_reserve_vcc 1
		.amdhsa_float_round_mode_32 0
		.amdhsa_float_round_mode_16_64 0
		.amdhsa_float_denorm_mode_32 3
		.amdhsa_float_denorm_mode_16_64 3
		.amdhsa_fp16_overflow 0
		.amdhsa_memory_ordered 1
		.amdhsa_forward_progress 1
		.amdhsa_inst_pref_size 4
		.amdhsa_round_robin_scheduling 0
		.amdhsa_exception_fp_ieee_invalid_op 0
		.amdhsa_exception_fp_denorm_src 0
		.amdhsa_exception_fp_ieee_div_zero 0
		.amdhsa_exception_fp_ieee_overflow 0
		.amdhsa_exception_fp_ieee_underflow 0
		.amdhsa_exception_fp_ieee_inexact 0
		.amdhsa_exception_int_div_zero 0
	.end_amdhsa_kernel
	.section	.text._Z11fill_kernelIfZ21hipblaslt_init_deviceIfEv8ABC_dims24hipblaslt_initializationbPT_mmmmmEUlmE4_EvS4_mmT0_,"axG",@progbits,_Z11fill_kernelIfZ21hipblaslt_init_deviceIfEv8ABC_dims24hipblaslt_initializationbPT_mmmmmEUlmE4_EvS4_mmT0_,comdat
.Lfunc_end5:
	.size	_Z11fill_kernelIfZ21hipblaslt_init_deviceIfEv8ABC_dims24hipblaslt_initializationbPT_mmmmmEUlmE4_EvS4_mmT0_, .Lfunc_end5-_Z11fill_kernelIfZ21hipblaslt_init_deviceIfEv8ABC_dims24hipblaslt_initializationbPT_mmmmmEUlmE4_EvS4_mmT0_
                                        ; -- End function
	.set _Z11fill_kernelIfZ21hipblaslt_init_deviceIfEv8ABC_dims24hipblaslt_initializationbPT_mmmmmEUlmE4_EvS4_mmT0_.num_vgpr, 12
	.set _Z11fill_kernelIfZ21hipblaslt_init_deviceIfEv8ABC_dims24hipblaslt_initializationbPT_mmmmmEUlmE4_EvS4_mmT0_.num_agpr, 0
	.set _Z11fill_kernelIfZ21hipblaslt_init_deviceIfEv8ABC_dims24hipblaslt_initializationbPT_mmmmmEUlmE4_EvS4_mmT0_.numbered_sgpr, 10
	.set _Z11fill_kernelIfZ21hipblaslt_init_deviceIfEv8ABC_dims24hipblaslt_initializationbPT_mmmmmEUlmE4_EvS4_mmT0_.num_named_barrier, 0
	.set _Z11fill_kernelIfZ21hipblaslt_init_deviceIfEv8ABC_dims24hipblaslt_initializationbPT_mmmmmEUlmE4_EvS4_mmT0_.private_seg_size, 0
	.set _Z11fill_kernelIfZ21hipblaslt_init_deviceIfEv8ABC_dims24hipblaslt_initializationbPT_mmmmmEUlmE4_EvS4_mmT0_.uses_vcc, 1
	.set _Z11fill_kernelIfZ21hipblaslt_init_deviceIfEv8ABC_dims24hipblaslt_initializationbPT_mmmmmEUlmE4_EvS4_mmT0_.uses_flat_scratch, 0
	.set _Z11fill_kernelIfZ21hipblaslt_init_deviceIfEv8ABC_dims24hipblaslt_initializationbPT_mmmmmEUlmE4_EvS4_mmT0_.has_dyn_sized_stack, 0
	.set _Z11fill_kernelIfZ21hipblaslt_init_deviceIfEv8ABC_dims24hipblaslt_initializationbPT_mmmmmEUlmE4_EvS4_mmT0_.has_recursion, 0
	.set _Z11fill_kernelIfZ21hipblaslt_init_deviceIfEv8ABC_dims24hipblaslt_initializationbPT_mmmmmEUlmE4_EvS4_mmT0_.has_indirect_call, 0
	.section	.AMDGPU.csdata,"",@progbits
; Kernel info:
; codeLenInByte = 468
; TotalNumSgprs: 12
; NumVgprs: 12
; ScratchSize: 0
; MemoryBound: 0
; FloatMode: 240
; IeeeMode: 1
; LDSByteSize: 0 bytes/workgroup (compile time only)
; SGPRBlocks: 0
; VGPRBlocks: 0
; NumSGPRsForWavesPerEU: 12
; NumVGPRsForWavesPerEU: 12
; NamedBarCnt: 0
; Occupancy: 16
; WaveLimiterHint : 0
; COMPUTE_PGM_RSRC2:SCRATCH_EN: 0
; COMPUTE_PGM_RSRC2:USER_SGPR: 2
; COMPUTE_PGM_RSRC2:TRAP_HANDLER: 0
; COMPUTE_PGM_RSRC2:TGID_X_EN: 1
; COMPUTE_PGM_RSRC2:TGID_Y_EN: 0
; COMPUTE_PGM_RSRC2:TGID_Z_EN: 0
; COMPUTE_PGM_RSRC2:TIDIG_COMP_CNT: 0
	.section	.text._Z11fill_kernelIfZ21hipblaslt_init_deviceIfEv8ABC_dims24hipblaslt_initializationbPT_mmmmmEUlmE5_EvS4_mmT0_,"axG",@progbits,_Z11fill_kernelIfZ21hipblaslt_init_deviceIfEv8ABC_dims24hipblaslt_initializationbPT_mmmmmEUlmE5_EvS4_mmT0_,comdat
	.protected	_Z11fill_kernelIfZ21hipblaslt_init_deviceIfEv8ABC_dims24hipblaslt_initializationbPT_mmmmmEUlmE5_EvS4_mmT0_ ; -- Begin function _Z11fill_kernelIfZ21hipblaslt_init_deviceIfEv8ABC_dims24hipblaslt_initializationbPT_mmmmmEUlmE5_EvS4_mmT0_
	.globl	_Z11fill_kernelIfZ21hipblaslt_init_deviceIfEv8ABC_dims24hipblaslt_initializationbPT_mmmmmEUlmE5_EvS4_mmT0_
	.p2align	8
	.type	_Z11fill_kernelIfZ21hipblaslt_init_deviceIfEv8ABC_dims24hipblaslt_initializationbPT_mmmmmEUlmE5_EvS4_mmT0_,@function
_Z11fill_kernelIfZ21hipblaslt_init_deviceIfEv8ABC_dims24hipblaslt_initializationbPT_mmmmmEUlmE5_EvS4_mmT0_: ; @_Z11fill_kernelIfZ21hipblaslt_init_deviceIfEv8ABC_dims24hipblaslt_initializationbPT_mmmmmEUlmE5_EvS4_mmT0_
; %bb.0:
	s_clause 0x1
	s_load_b32 s2, s[0:1], 0x2c
	s_load_b128 s[4:7], s[0:1], 0x0
	s_bfe_u32 s3, ttmp6, 0x4000c
	s_and_b32 s8, ttmp6, 15
	s_add_co_i32 s3, s3, 1
	s_getreg_b32 s9, hwreg(HW_REG_IB_STS2, 6, 4)
	s_mul_i32 s3, ttmp9, s3
	v_mov_b32_e32 v1, 0
	s_add_co_i32 s8, s8, s3
	s_wait_kmcnt 0x0
	s_and_b32 s2, s2, 0xffff
	s_cmp_eq_u32 s9, 0
	s_cselect_b32 s3, ttmp9, s8
	s_delay_alu instid0(SALU_CYCLE_1) | instskip(SKIP_1) | instid1(VALU_DEP_1)
	v_mad_u32 v0, s3, s2, v0
	s_mov_b32 s2, exec_lo
	v_cmpx_gt_u64_e64 s[6:7], v[0:1]
	s_cbranch_execz .LBB6_2
; %bb.1:
	s_load_b64 s[0:1], s[0:1], 0x10
	v_mov_b32_e32 v2, 0x477f0000
	s_wait_kmcnt 0x0
	s_lshl_b64 s[0:1], s[0:1], 2
	s_delay_alu instid0(SALU_CYCLE_1) | instskip(NEXT) | instid1(SALU_CYCLE_1)
	s_add_nc_u64 s[0:1], s[4:5], s[0:1]
	v_lshl_add_u64 v[0:1], v[0:1], 2, s[0:1]
	global_store_b32 v[0:1], v2, off
.LBB6_2:
	s_endpgm
	.section	.rodata,"a",@progbits
	.p2align	6, 0x0
	.amdhsa_kernel _Z11fill_kernelIfZ21hipblaslt_init_deviceIfEv8ABC_dims24hipblaslt_initializationbPT_mmmmmEUlmE5_EvS4_mmT0_
		.amdhsa_group_segment_fixed_size 0
		.amdhsa_private_segment_fixed_size 0
		.amdhsa_kernarg_size 288
		.amdhsa_user_sgpr_count 2
		.amdhsa_user_sgpr_dispatch_ptr 0
		.amdhsa_user_sgpr_queue_ptr 0
		.amdhsa_user_sgpr_kernarg_segment_ptr 1
		.amdhsa_user_sgpr_dispatch_id 0
		.amdhsa_user_sgpr_kernarg_preload_length 0
		.amdhsa_user_sgpr_kernarg_preload_offset 0
		.amdhsa_user_sgpr_private_segment_size 0
		.amdhsa_wavefront_size32 1
		.amdhsa_uses_dynamic_stack 0
		.amdhsa_enable_private_segment 0
		.amdhsa_system_sgpr_workgroup_id_x 1
		.amdhsa_system_sgpr_workgroup_id_y 0
		.amdhsa_system_sgpr_workgroup_id_z 0
		.amdhsa_system_sgpr_workgroup_info 0
		.amdhsa_system_vgpr_workitem_id 0
		.amdhsa_next_free_vgpr 3
		.amdhsa_next_free_sgpr 10
		.amdhsa_named_barrier_count 0
		.amdhsa_reserve_vcc 0
		.amdhsa_float_round_mode_32 0
		.amdhsa_float_round_mode_16_64 0
		.amdhsa_float_denorm_mode_32 3
		.amdhsa_float_denorm_mode_16_64 3
		.amdhsa_fp16_overflow 0
		.amdhsa_memory_ordered 1
		.amdhsa_forward_progress 1
		.amdhsa_inst_pref_size 2
		.amdhsa_round_robin_scheduling 0
		.amdhsa_exception_fp_ieee_invalid_op 0
		.amdhsa_exception_fp_denorm_src 0
		.amdhsa_exception_fp_ieee_div_zero 0
		.amdhsa_exception_fp_ieee_overflow 0
		.amdhsa_exception_fp_ieee_underflow 0
		.amdhsa_exception_fp_ieee_inexact 0
		.amdhsa_exception_int_div_zero 0
	.end_amdhsa_kernel
	.section	.text._Z11fill_kernelIfZ21hipblaslt_init_deviceIfEv8ABC_dims24hipblaslt_initializationbPT_mmmmmEUlmE5_EvS4_mmT0_,"axG",@progbits,_Z11fill_kernelIfZ21hipblaslt_init_deviceIfEv8ABC_dims24hipblaslt_initializationbPT_mmmmmEUlmE5_EvS4_mmT0_,comdat
.Lfunc_end6:
	.size	_Z11fill_kernelIfZ21hipblaslt_init_deviceIfEv8ABC_dims24hipblaslt_initializationbPT_mmmmmEUlmE5_EvS4_mmT0_, .Lfunc_end6-_Z11fill_kernelIfZ21hipblaslt_init_deviceIfEv8ABC_dims24hipblaslt_initializationbPT_mmmmmEUlmE5_EvS4_mmT0_
                                        ; -- End function
	.set _Z11fill_kernelIfZ21hipblaslt_init_deviceIfEv8ABC_dims24hipblaslt_initializationbPT_mmmmmEUlmE5_EvS4_mmT0_.num_vgpr, 3
	.set _Z11fill_kernelIfZ21hipblaslt_init_deviceIfEv8ABC_dims24hipblaslt_initializationbPT_mmmmmEUlmE5_EvS4_mmT0_.num_agpr, 0
	.set _Z11fill_kernelIfZ21hipblaslt_init_deviceIfEv8ABC_dims24hipblaslt_initializationbPT_mmmmmEUlmE5_EvS4_mmT0_.numbered_sgpr, 10
	.set _Z11fill_kernelIfZ21hipblaslt_init_deviceIfEv8ABC_dims24hipblaslt_initializationbPT_mmmmmEUlmE5_EvS4_mmT0_.num_named_barrier, 0
	.set _Z11fill_kernelIfZ21hipblaslt_init_deviceIfEv8ABC_dims24hipblaslt_initializationbPT_mmmmmEUlmE5_EvS4_mmT0_.private_seg_size, 0
	.set _Z11fill_kernelIfZ21hipblaslt_init_deviceIfEv8ABC_dims24hipblaslt_initializationbPT_mmmmmEUlmE5_EvS4_mmT0_.uses_vcc, 0
	.set _Z11fill_kernelIfZ21hipblaslt_init_deviceIfEv8ABC_dims24hipblaslt_initializationbPT_mmmmmEUlmE5_EvS4_mmT0_.uses_flat_scratch, 0
	.set _Z11fill_kernelIfZ21hipblaslt_init_deviceIfEv8ABC_dims24hipblaslt_initializationbPT_mmmmmEUlmE5_EvS4_mmT0_.has_dyn_sized_stack, 0
	.set _Z11fill_kernelIfZ21hipblaslt_init_deviceIfEv8ABC_dims24hipblaslt_initializationbPT_mmmmmEUlmE5_EvS4_mmT0_.has_recursion, 0
	.set _Z11fill_kernelIfZ21hipblaslt_init_deviceIfEv8ABC_dims24hipblaslt_initializationbPT_mmmmmEUlmE5_EvS4_mmT0_.has_indirect_call, 0
	.section	.AMDGPU.csdata,"",@progbits
; Kernel info:
; codeLenInByte = 156
; TotalNumSgprs: 10
; NumVgprs: 3
; ScratchSize: 0
; MemoryBound: 0
; FloatMode: 240
; IeeeMode: 1
; LDSByteSize: 0 bytes/workgroup (compile time only)
; SGPRBlocks: 0
; VGPRBlocks: 0
; NumSGPRsForWavesPerEU: 10
; NumVGPRsForWavesPerEU: 3
; NamedBarCnt: 0
; Occupancy: 16
; WaveLimiterHint : 0
; COMPUTE_PGM_RSRC2:SCRATCH_EN: 0
; COMPUTE_PGM_RSRC2:USER_SGPR: 2
; COMPUTE_PGM_RSRC2:TRAP_HANDLER: 0
; COMPUTE_PGM_RSRC2:TGID_X_EN: 1
; COMPUTE_PGM_RSRC2:TGID_Y_EN: 0
; COMPUTE_PGM_RSRC2:TGID_Z_EN: 0
; COMPUTE_PGM_RSRC2:TIDIG_COMP_CNT: 0
	.section	.text._Z11fill_kernelIfZ21hipblaslt_init_deviceIfEv8ABC_dims24hipblaslt_initializationbPT_mmmmmEUlmE6_EvS4_mmT0_,"axG",@progbits,_Z11fill_kernelIfZ21hipblaslt_init_deviceIfEv8ABC_dims24hipblaslt_initializationbPT_mmmmmEUlmE6_EvS4_mmT0_,comdat
	.protected	_Z11fill_kernelIfZ21hipblaslt_init_deviceIfEv8ABC_dims24hipblaslt_initializationbPT_mmmmmEUlmE6_EvS4_mmT0_ ; -- Begin function _Z11fill_kernelIfZ21hipblaslt_init_deviceIfEv8ABC_dims24hipblaslt_initializationbPT_mmmmmEUlmE6_EvS4_mmT0_
	.globl	_Z11fill_kernelIfZ21hipblaslt_init_deviceIfEv8ABC_dims24hipblaslt_initializationbPT_mmmmmEUlmE6_EvS4_mmT0_
	.p2align	8
	.type	_Z11fill_kernelIfZ21hipblaslt_init_deviceIfEv8ABC_dims24hipblaslt_initializationbPT_mmmmmEUlmE6_EvS4_mmT0_,@function
_Z11fill_kernelIfZ21hipblaslt_init_deviceIfEv8ABC_dims24hipblaslt_initializationbPT_mmmmmEUlmE6_EvS4_mmT0_: ; @_Z11fill_kernelIfZ21hipblaslt_init_deviceIfEv8ABC_dims24hipblaslt_initializationbPT_mmmmmEUlmE6_EvS4_mmT0_
; %bb.0:
	s_clause 0x1
	s_load_b32 s2, s[0:1], 0x2c
	s_load_b128 s[4:7], s[0:1], 0x0
	s_bfe_u32 s3, ttmp6, 0x4000c
	s_and_b32 s8, ttmp6, 15
	s_add_co_i32 s3, s3, 1
	s_getreg_b32 s9, hwreg(HW_REG_IB_STS2, 6, 4)
	s_mul_i32 s3, ttmp9, s3
	v_mov_b32_e32 v1, 0
	s_add_co_i32 s8, s8, s3
	s_wait_kmcnt 0x0
	s_and_b32 s2, s2, 0xffff
	s_cmp_eq_u32 s9, 0
	s_cselect_b32 s3, ttmp9, s8
	s_delay_alu instid0(SALU_CYCLE_1) | instskip(SKIP_1) | instid1(VALU_DEP_1)
	v_mad_u32 v0, s3, s2, v0
	s_mov_b32 s2, exec_lo
	v_cmpx_gt_u64_e64 s[6:7], v[0:1]
	s_cbranch_execz .LBB7_2
; %bb.1:
	s_load_b64 s[0:1], s[0:1], 0x10
	v_mov_b32_e32 v2, 0x387f0000
	s_wait_kmcnt 0x0
	s_lshl_b64 s[0:1], s[0:1], 2
	s_delay_alu instid0(SALU_CYCLE_1) | instskip(NEXT) | instid1(SALU_CYCLE_1)
	s_add_nc_u64 s[0:1], s[4:5], s[0:1]
	v_lshl_add_u64 v[0:1], v[0:1], 2, s[0:1]
	global_store_b32 v[0:1], v2, off
.LBB7_2:
	s_endpgm
	.section	.rodata,"a",@progbits
	.p2align	6, 0x0
	.amdhsa_kernel _Z11fill_kernelIfZ21hipblaslt_init_deviceIfEv8ABC_dims24hipblaslt_initializationbPT_mmmmmEUlmE6_EvS4_mmT0_
		.amdhsa_group_segment_fixed_size 0
		.amdhsa_private_segment_fixed_size 0
		.amdhsa_kernarg_size 288
		.amdhsa_user_sgpr_count 2
		.amdhsa_user_sgpr_dispatch_ptr 0
		.amdhsa_user_sgpr_queue_ptr 0
		.amdhsa_user_sgpr_kernarg_segment_ptr 1
		.amdhsa_user_sgpr_dispatch_id 0
		.amdhsa_user_sgpr_kernarg_preload_length 0
		.amdhsa_user_sgpr_kernarg_preload_offset 0
		.amdhsa_user_sgpr_private_segment_size 0
		.amdhsa_wavefront_size32 1
		.amdhsa_uses_dynamic_stack 0
		.amdhsa_enable_private_segment 0
		.amdhsa_system_sgpr_workgroup_id_x 1
		.amdhsa_system_sgpr_workgroup_id_y 0
		.amdhsa_system_sgpr_workgroup_id_z 0
		.amdhsa_system_sgpr_workgroup_info 0
		.amdhsa_system_vgpr_workitem_id 0
		.amdhsa_next_free_vgpr 3
		.amdhsa_next_free_sgpr 10
		.amdhsa_named_barrier_count 0
		.amdhsa_reserve_vcc 0
		.amdhsa_float_round_mode_32 0
		.amdhsa_float_round_mode_16_64 0
		.amdhsa_float_denorm_mode_32 3
		.amdhsa_float_denorm_mode_16_64 3
		.amdhsa_fp16_overflow 0
		.amdhsa_memory_ordered 1
		.amdhsa_forward_progress 1
		.amdhsa_inst_pref_size 2
		.amdhsa_round_robin_scheduling 0
		.amdhsa_exception_fp_ieee_invalid_op 0
		.amdhsa_exception_fp_denorm_src 0
		.amdhsa_exception_fp_ieee_div_zero 0
		.amdhsa_exception_fp_ieee_overflow 0
		.amdhsa_exception_fp_ieee_underflow 0
		.amdhsa_exception_fp_ieee_inexact 0
		.amdhsa_exception_int_div_zero 0
	.end_amdhsa_kernel
	.section	.text._Z11fill_kernelIfZ21hipblaslt_init_deviceIfEv8ABC_dims24hipblaslt_initializationbPT_mmmmmEUlmE6_EvS4_mmT0_,"axG",@progbits,_Z11fill_kernelIfZ21hipblaslt_init_deviceIfEv8ABC_dims24hipblaslt_initializationbPT_mmmmmEUlmE6_EvS4_mmT0_,comdat
.Lfunc_end7:
	.size	_Z11fill_kernelIfZ21hipblaslt_init_deviceIfEv8ABC_dims24hipblaslt_initializationbPT_mmmmmEUlmE6_EvS4_mmT0_, .Lfunc_end7-_Z11fill_kernelIfZ21hipblaslt_init_deviceIfEv8ABC_dims24hipblaslt_initializationbPT_mmmmmEUlmE6_EvS4_mmT0_
                                        ; -- End function
	.set _Z11fill_kernelIfZ21hipblaslt_init_deviceIfEv8ABC_dims24hipblaslt_initializationbPT_mmmmmEUlmE6_EvS4_mmT0_.num_vgpr, 3
	.set _Z11fill_kernelIfZ21hipblaslt_init_deviceIfEv8ABC_dims24hipblaslt_initializationbPT_mmmmmEUlmE6_EvS4_mmT0_.num_agpr, 0
	.set _Z11fill_kernelIfZ21hipblaslt_init_deviceIfEv8ABC_dims24hipblaslt_initializationbPT_mmmmmEUlmE6_EvS4_mmT0_.numbered_sgpr, 10
	.set _Z11fill_kernelIfZ21hipblaslt_init_deviceIfEv8ABC_dims24hipblaslt_initializationbPT_mmmmmEUlmE6_EvS4_mmT0_.num_named_barrier, 0
	.set _Z11fill_kernelIfZ21hipblaslt_init_deviceIfEv8ABC_dims24hipblaslt_initializationbPT_mmmmmEUlmE6_EvS4_mmT0_.private_seg_size, 0
	.set _Z11fill_kernelIfZ21hipblaslt_init_deviceIfEv8ABC_dims24hipblaslt_initializationbPT_mmmmmEUlmE6_EvS4_mmT0_.uses_vcc, 0
	.set _Z11fill_kernelIfZ21hipblaslt_init_deviceIfEv8ABC_dims24hipblaslt_initializationbPT_mmmmmEUlmE6_EvS4_mmT0_.uses_flat_scratch, 0
	.set _Z11fill_kernelIfZ21hipblaslt_init_deviceIfEv8ABC_dims24hipblaslt_initializationbPT_mmmmmEUlmE6_EvS4_mmT0_.has_dyn_sized_stack, 0
	.set _Z11fill_kernelIfZ21hipblaslt_init_deviceIfEv8ABC_dims24hipblaslt_initializationbPT_mmmmmEUlmE6_EvS4_mmT0_.has_recursion, 0
	.set _Z11fill_kernelIfZ21hipblaslt_init_deviceIfEv8ABC_dims24hipblaslt_initializationbPT_mmmmmEUlmE6_EvS4_mmT0_.has_indirect_call, 0
	.section	.AMDGPU.csdata,"",@progbits
; Kernel info:
; codeLenInByte = 156
; TotalNumSgprs: 10
; NumVgprs: 3
; ScratchSize: 0
; MemoryBound: 0
; FloatMode: 240
; IeeeMode: 1
; LDSByteSize: 0 bytes/workgroup (compile time only)
; SGPRBlocks: 0
; VGPRBlocks: 0
; NumSGPRsForWavesPerEU: 10
; NumVGPRsForWavesPerEU: 3
; NamedBarCnt: 0
; Occupancy: 16
; WaveLimiterHint : 0
; COMPUTE_PGM_RSRC2:SCRATCH_EN: 0
; COMPUTE_PGM_RSRC2:USER_SGPR: 2
; COMPUTE_PGM_RSRC2:TRAP_HANDLER: 0
; COMPUTE_PGM_RSRC2:TGID_X_EN: 1
; COMPUTE_PGM_RSRC2:TGID_Y_EN: 0
; COMPUTE_PGM_RSRC2:TGID_Z_EN: 0
; COMPUTE_PGM_RSRC2:TIDIG_COMP_CNT: 0
	.section	.text._Z11fill_kernelIfZ21hipblaslt_init_deviceIfEv8ABC_dims24hipblaslt_initializationbPT_mmmmmEUlmE7_EvS4_mmT0_,"axG",@progbits,_Z11fill_kernelIfZ21hipblaslt_init_deviceIfEv8ABC_dims24hipblaslt_initializationbPT_mmmmmEUlmE7_EvS4_mmT0_,comdat
	.protected	_Z11fill_kernelIfZ21hipblaslt_init_deviceIfEv8ABC_dims24hipblaslt_initializationbPT_mmmmmEUlmE7_EvS4_mmT0_ ; -- Begin function _Z11fill_kernelIfZ21hipblaslt_init_deviceIfEv8ABC_dims24hipblaslt_initializationbPT_mmmmmEUlmE7_EvS4_mmT0_
	.globl	_Z11fill_kernelIfZ21hipblaslt_init_deviceIfEv8ABC_dims24hipblaslt_initializationbPT_mmmmmEUlmE7_EvS4_mmT0_
	.p2align	8
	.type	_Z11fill_kernelIfZ21hipblaslt_init_deviceIfEv8ABC_dims24hipblaslt_initializationbPT_mmmmmEUlmE7_EvS4_mmT0_,@function
_Z11fill_kernelIfZ21hipblaslt_init_deviceIfEv8ABC_dims24hipblaslt_initializationbPT_mmmmmEUlmE7_EvS4_mmT0_: ; @_Z11fill_kernelIfZ21hipblaslt_init_deviceIfEv8ABC_dims24hipblaslt_initializationbPT_mmmmmEUlmE7_EvS4_mmT0_
; %bb.0:
	s_clause 0x1
	s_load_b32 s2, s[0:1], 0x2c
	s_load_b128 s[4:7], s[0:1], 0x0
	s_bfe_u32 s3, ttmp6, 0x4000c
	s_and_b32 s8, ttmp6, 15
	s_add_co_i32 s3, s3, 1
	s_getreg_b32 s9, hwreg(HW_REG_IB_STS2, 6, 4)
	s_mul_i32 s3, ttmp9, s3
	v_mov_b32_e32 v1, 0
	s_add_co_i32 s8, s8, s3
	s_wait_kmcnt 0x0
	s_and_b32 s2, s2, 0xffff
	s_cmp_eq_u32 s9, 0
	s_cselect_b32 s3, ttmp9, s8
	s_delay_alu instid0(SALU_CYCLE_1) | instskip(SKIP_1) | instid1(VALU_DEP_1)
	v_mad_u32 v0, s3, s2, v0
	s_mov_b32 s2, exec_lo
	v_cmpx_gt_u64_e64 s[6:7], v[0:1]
	s_cbranch_execz .LBB8_2
; %bb.1:
	s_load_b64 s[0:1], s[0:1], 0x10
	s_wait_kmcnt 0x0
	v_add_nc_u64_e32 v[0:1], s[0:1], v[0:1]
	s_mov_b32 s0, 0x19660d
	s_delay_alu instid0(VALU_DEP_1) | instid1(SALU_CYCLE_1)
	v_mad_nc_u64_u32 v[2:3], v0, s0, 0x3c6ef35f
	s_delay_alu instid0(VALU_DEP_1) | instskip(SKIP_1) | instid1(VALU_DEP_2)
	v_mad_u32 v3, 0x19660d, v1, v3
	v_lshl_add_u64 v[0:1], v[0:1], 2, s[4:5]
	v_lshlrev_b64_e32 v[4:5], 13, v[2:3]
	s_delay_alu instid0(VALU_DEP_1) | instskip(NEXT) | instid1(VALU_DEP_2)
	v_xor_b32_e32 v3, v5, v3
	v_xor_b32_e32 v2, v4, v2
	s_delay_alu instid0(VALU_DEP_1) | instskip(NEXT) | instid1(VALU_DEP_1)
	v_lshrrev_b64 v[4:5], 17, v[2:3]
	v_xor_b32_e32 v3, v5, v3
	s_delay_alu instid0(VALU_DEP_2) | instskip(NEXT) | instid1(VALU_DEP_1)
	v_xor_b32_e32 v2, v4, v2
	v_lshlrev_b64_e32 v[4:5], 5, v[2:3]
	s_delay_alu instid0(VALU_DEP_1) | instskip(NEXT) | instid1(VALU_DEP_2)
	v_xor_b32_e32 v3, v5, v3
	v_xor_b32_e32 v2, v4, v2
	s_delay_alu instid0(VALU_DEP_1) | instskip(NEXT) | instid1(VALU_DEP_1)
	v_lshlrev_b64_e32 v[4:5], 13, v[2:3]
	v_xor_b32_e32 v3, v5, v3
	s_delay_alu instid0(VALU_DEP_2) | instskip(NEXT) | instid1(VALU_DEP_1)
	v_xor_b32_e32 v2, v4, v2
	v_lshrrev_b64 v[4:5], 17, v[2:3]
	s_delay_alu instid0(VALU_DEP_1) | instskip(NEXT) | instid1(VALU_DEP_2)
	v_xor_b32_e32 v3, v5, v3
	v_xor_b32_e32 v2, v4, v2
	s_delay_alu instid0(VALU_DEP_1) | instskip(NEXT) | instid1(VALU_DEP_1)
	v_lshlrev_b64_e32 v[4:5], 5, v[2:3]
	v_xor_b32_e32 v3, v5, v3
	s_delay_alu instid0(VALU_DEP_2) | instskip(NEXT) | instid1(VALU_DEP_1)
	v_xor_b32_e32 v2, v4, v2
	v_lshlrev_b64_e32 v[4:5], 13, v[2:3]
	s_delay_alu instid0(VALU_DEP_1) | instskip(NEXT) | instid1(VALU_DEP_2)
	v_xor_b32_e32 v3, v5, v3
	v_xor_b32_e32 v2, v4, v2
	s_delay_alu instid0(VALU_DEP_1) | instskip(NEXT) | instid1(VALU_DEP_1)
	v_alignbit_b32 v3, v3, v2, 17
	v_xor_b32_e32 v2, v3, v2
	s_delay_alu instid0(VALU_DEP_1) | instskip(NEXT) | instid1(VALU_DEP_1)
	v_lshlrev_b32_e32 v3, 5, v2
	v_xor_b32_e32 v2, v3, v2
	s_delay_alu instid0(VALU_DEP_1) | instskip(NEXT) | instid1(VALU_DEP_1)
	v_mul_hi_u32 v3, 0xcccccccd, v2
	v_lshrrev_b32_e32 v3, 3, v3
	s_delay_alu instid0(VALU_DEP_1) | instskip(NEXT) | instid1(VALU_DEP_1)
	v_mul_lo_u32 v3, v3, 10
	v_sub_nc_u32_e32 v2, v2, v3
	s_delay_alu instid0(VALU_DEP_1) | instskip(NEXT) | instid1(VALU_DEP_1)
	v_add_nc_u32_e32 v2, 1, v2
	v_cvt_f32_u32_e32 v2, v2
	global_store_b32 v[0:1], v2, off
.LBB8_2:
	s_endpgm
	.section	.rodata,"a",@progbits
	.p2align	6, 0x0
	.amdhsa_kernel _Z11fill_kernelIfZ21hipblaslt_init_deviceIfEv8ABC_dims24hipblaslt_initializationbPT_mmmmmEUlmE7_EvS4_mmT0_
		.amdhsa_group_segment_fixed_size 0
		.amdhsa_private_segment_fixed_size 0
		.amdhsa_kernarg_size 288
		.amdhsa_user_sgpr_count 2
		.amdhsa_user_sgpr_dispatch_ptr 0
		.amdhsa_user_sgpr_queue_ptr 0
		.amdhsa_user_sgpr_kernarg_segment_ptr 1
		.amdhsa_user_sgpr_dispatch_id 0
		.amdhsa_user_sgpr_kernarg_preload_length 0
		.amdhsa_user_sgpr_kernarg_preload_offset 0
		.amdhsa_user_sgpr_private_segment_size 0
		.amdhsa_wavefront_size32 1
		.amdhsa_uses_dynamic_stack 0
		.amdhsa_enable_private_segment 0
		.amdhsa_system_sgpr_workgroup_id_x 1
		.amdhsa_system_sgpr_workgroup_id_y 0
		.amdhsa_system_sgpr_workgroup_id_z 0
		.amdhsa_system_sgpr_workgroup_info 0
		.amdhsa_system_vgpr_workitem_id 0
		.amdhsa_next_free_vgpr 6
		.amdhsa_next_free_sgpr 10
		.amdhsa_named_barrier_count 0
		.amdhsa_reserve_vcc 0
		.amdhsa_float_round_mode_32 0
		.amdhsa_float_round_mode_16_64 0
		.amdhsa_float_denorm_mode_32 3
		.amdhsa_float_denorm_mode_16_64 3
		.amdhsa_fp16_overflow 0
		.amdhsa_memory_ordered 1
		.amdhsa_forward_progress 1
		.amdhsa_inst_pref_size 4
		.amdhsa_round_robin_scheduling 0
		.amdhsa_exception_fp_ieee_invalid_op 0
		.amdhsa_exception_fp_denorm_src 0
		.amdhsa_exception_fp_ieee_div_zero 0
		.amdhsa_exception_fp_ieee_overflow 0
		.amdhsa_exception_fp_ieee_underflow 0
		.amdhsa_exception_fp_ieee_inexact 0
		.amdhsa_exception_int_div_zero 0
	.end_amdhsa_kernel
	.section	.text._Z11fill_kernelIfZ21hipblaslt_init_deviceIfEv8ABC_dims24hipblaslt_initializationbPT_mmmmmEUlmE7_EvS4_mmT0_,"axG",@progbits,_Z11fill_kernelIfZ21hipblaslt_init_deviceIfEv8ABC_dims24hipblaslt_initializationbPT_mmmmmEUlmE7_EvS4_mmT0_,comdat
.Lfunc_end8:
	.size	_Z11fill_kernelIfZ21hipblaslt_init_deviceIfEv8ABC_dims24hipblaslt_initializationbPT_mmmmmEUlmE7_EvS4_mmT0_, .Lfunc_end8-_Z11fill_kernelIfZ21hipblaslt_init_deviceIfEv8ABC_dims24hipblaslt_initializationbPT_mmmmmEUlmE7_EvS4_mmT0_
                                        ; -- End function
	.set _Z11fill_kernelIfZ21hipblaslt_init_deviceIfEv8ABC_dims24hipblaslt_initializationbPT_mmmmmEUlmE7_EvS4_mmT0_.num_vgpr, 6
	.set _Z11fill_kernelIfZ21hipblaslt_init_deviceIfEv8ABC_dims24hipblaslt_initializationbPT_mmmmmEUlmE7_EvS4_mmT0_.num_agpr, 0
	.set _Z11fill_kernelIfZ21hipblaslt_init_deviceIfEv8ABC_dims24hipblaslt_initializationbPT_mmmmmEUlmE7_EvS4_mmT0_.numbered_sgpr, 10
	.set _Z11fill_kernelIfZ21hipblaslt_init_deviceIfEv8ABC_dims24hipblaslt_initializationbPT_mmmmmEUlmE7_EvS4_mmT0_.num_named_barrier, 0
	.set _Z11fill_kernelIfZ21hipblaslt_init_deviceIfEv8ABC_dims24hipblaslt_initializationbPT_mmmmmEUlmE7_EvS4_mmT0_.private_seg_size, 0
	.set _Z11fill_kernelIfZ21hipblaslt_init_deviceIfEv8ABC_dims24hipblaslt_initializationbPT_mmmmmEUlmE7_EvS4_mmT0_.uses_vcc, 0
	.set _Z11fill_kernelIfZ21hipblaslt_init_deviceIfEv8ABC_dims24hipblaslt_initializationbPT_mmmmmEUlmE7_EvS4_mmT0_.uses_flat_scratch, 0
	.set _Z11fill_kernelIfZ21hipblaslt_init_deviceIfEv8ABC_dims24hipblaslt_initializationbPT_mmmmmEUlmE7_EvS4_mmT0_.has_dyn_sized_stack, 0
	.set _Z11fill_kernelIfZ21hipblaslt_init_deviceIfEv8ABC_dims24hipblaslt_initializationbPT_mmmmmEUlmE7_EvS4_mmT0_.has_recursion, 0
	.set _Z11fill_kernelIfZ21hipblaslt_init_deviceIfEv8ABC_dims24hipblaslt_initializationbPT_mmmmmEUlmE7_EvS4_mmT0_.has_indirect_call, 0
	.section	.AMDGPU.csdata,"",@progbits
; Kernel info:
; codeLenInByte = 388
; TotalNumSgprs: 10
; NumVgprs: 6
; ScratchSize: 0
; MemoryBound: 0
; FloatMode: 240
; IeeeMode: 1
; LDSByteSize: 0 bytes/workgroup (compile time only)
; SGPRBlocks: 0
; VGPRBlocks: 0
; NumSGPRsForWavesPerEU: 10
; NumVGPRsForWavesPerEU: 6
; NamedBarCnt: 0
; Occupancy: 16
; WaveLimiterHint : 0
; COMPUTE_PGM_RSRC2:SCRATCH_EN: 0
; COMPUTE_PGM_RSRC2:USER_SGPR: 2
; COMPUTE_PGM_RSRC2:TRAP_HANDLER: 0
; COMPUTE_PGM_RSRC2:TGID_X_EN: 1
; COMPUTE_PGM_RSRC2:TGID_Y_EN: 0
; COMPUTE_PGM_RSRC2:TGID_Z_EN: 0
; COMPUTE_PGM_RSRC2:TIDIG_COMP_CNT: 0
	.section	.text._Z11fill_kernelIfZ21hipblaslt_init_deviceIfEv8ABC_dims24hipblaslt_initializationbPT_mmmmmEUlmE8_EvS4_mmT0_,"axG",@progbits,_Z11fill_kernelIfZ21hipblaslt_init_deviceIfEv8ABC_dims24hipblaslt_initializationbPT_mmmmmEUlmE8_EvS4_mmT0_,comdat
	.protected	_Z11fill_kernelIfZ21hipblaslt_init_deviceIfEv8ABC_dims24hipblaslt_initializationbPT_mmmmmEUlmE8_EvS4_mmT0_ ; -- Begin function _Z11fill_kernelIfZ21hipblaslt_init_deviceIfEv8ABC_dims24hipblaslt_initializationbPT_mmmmmEUlmE8_EvS4_mmT0_
	.globl	_Z11fill_kernelIfZ21hipblaslt_init_deviceIfEv8ABC_dims24hipblaslt_initializationbPT_mmmmmEUlmE8_EvS4_mmT0_
	.p2align	8
	.type	_Z11fill_kernelIfZ21hipblaslt_init_deviceIfEv8ABC_dims24hipblaslt_initializationbPT_mmmmmEUlmE8_EvS4_mmT0_,@function
_Z11fill_kernelIfZ21hipblaslt_init_deviceIfEv8ABC_dims24hipblaslt_initializationbPT_mmmmmEUlmE8_EvS4_mmT0_: ; @_Z11fill_kernelIfZ21hipblaslt_init_deviceIfEv8ABC_dims24hipblaslt_initializationbPT_mmmmmEUlmE8_EvS4_mmT0_
; %bb.0:
	s_clause 0x1
	s_load_b32 s2, s[0:1], 0x2c
	s_load_b128 s[4:7], s[0:1], 0x0
	s_bfe_u32 s3, ttmp6, 0x4000c
	s_and_b32 s8, ttmp6, 15
	s_add_co_i32 s3, s3, 1
	s_getreg_b32 s9, hwreg(HW_REG_IB_STS2, 6, 4)
	s_mul_i32 s3, ttmp9, s3
	v_mov_b32_e32 v1, 0
	s_add_co_i32 s8, s8, s3
	s_wait_kmcnt 0x0
	s_and_b32 s2, s2, 0xffff
	s_cmp_eq_u32 s9, 0
	s_cselect_b32 s3, ttmp9, s8
	s_delay_alu instid0(SALU_CYCLE_1) | instskip(SKIP_1) | instid1(VALU_DEP_1)
	v_mad_u32 v0, s3, s2, v0
	s_mov_b32 s2, exec_lo
	v_cmpx_gt_u64_e64 s[6:7], v[0:1]
	s_cbranch_execz .LBB9_2
; %bb.1:
	s_load_b64 s[0:1], s[0:1], 0x10
	s_wait_kmcnt 0x0
	s_lshl_b64 s[0:1], s[0:1], 2
	s_delay_alu instid0(SALU_CYCLE_1) | instskip(NEXT) | instid1(SALU_CYCLE_1)
	s_add_nc_u64 s[0:1], s[4:5], s[0:1]
	v_lshl_add_u64 v[2:3], v[0:1], 2, s[0:1]
	global_store_b32 v[2:3], v1, off
.LBB9_2:
	s_endpgm
	.section	.rodata,"a",@progbits
	.p2align	6, 0x0
	.amdhsa_kernel _Z11fill_kernelIfZ21hipblaslt_init_deviceIfEv8ABC_dims24hipblaslt_initializationbPT_mmmmmEUlmE8_EvS4_mmT0_
		.amdhsa_group_segment_fixed_size 0
		.amdhsa_private_segment_fixed_size 0
		.amdhsa_kernarg_size 288
		.amdhsa_user_sgpr_count 2
		.amdhsa_user_sgpr_dispatch_ptr 0
		.amdhsa_user_sgpr_queue_ptr 0
		.amdhsa_user_sgpr_kernarg_segment_ptr 1
		.amdhsa_user_sgpr_dispatch_id 0
		.amdhsa_user_sgpr_kernarg_preload_length 0
		.amdhsa_user_sgpr_kernarg_preload_offset 0
		.amdhsa_user_sgpr_private_segment_size 0
		.amdhsa_wavefront_size32 1
		.amdhsa_uses_dynamic_stack 0
		.amdhsa_enable_private_segment 0
		.amdhsa_system_sgpr_workgroup_id_x 1
		.amdhsa_system_sgpr_workgroup_id_y 0
		.amdhsa_system_sgpr_workgroup_id_z 0
		.amdhsa_system_sgpr_workgroup_info 0
		.amdhsa_system_vgpr_workitem_id 0
		.amdhsa_next_free_vgpr 4
		.amdhsa_next_free_sgpr 10
		.amdhsa_named_barrier_count 0
		.amdhsa_reserve_vcc 0
		.amdhsa_float_round_mode_32 0
		.amdhsa_float_round_mode_16_64 0
		.amdhsa_float_denorm_mode_32 3
		.amdhsa_float_denorm_mode_16_64 3
		.amdhsa_fp16_overflow 0
		.amdhsa_memory_ordered 1
		.amdhsa_forward_progress 1
		.amdhsa_inst_pref_size 2
		.amdhsa_round_robin_scheduling 0
		.amdhsa_exception_fp_ieee_invalid_op 0
		.amdhsa_exception_fp_denorm_src 0
		.amdhsa_exception_fp_ieee_div_zero 0
		.amdhsa_exception_fp_ieee_overflow 0
		.amdhsa_exception_fp_ieee_underflow 0
		.amdhsa_exception_fp_ieee_inexact 0
		.amdhsa_exception_int_div_zero 0
	.end_amdhsa_kernel
	.section	.text._Z11fill_kernelIfZ21hipblaslt_init_deviceIfEv8ABC_dims24hipblaslt_initializationbPT_mmmmmEUlmE8_EvS4_mmT0_,"axG",@progbits,_Z11fill_kernelIfZ21hipblaslt_init_deviceIfEv8ABC_dims24hipblaslt_initializationbPT_mmmmmEUlmE8_EvS4_mmT0_,comdat
.Lfunc_end9:
	.size	_Z11fill_kernelIfZ21hipblaslt_init_deviceIfEv8ABC_dims24hipblaslt_initializationbPT_mmmmmEUlmE8_EvS4_mmT0_, .Lfunc_end9-_Z11fill_kernelIfZ21hipblaslt_init_deviceIfEv8ABC_dims24hipblaslt_initializationbPT_mmmmmEUlmE8_EvS4_mmT0_
                                        ; -- End function
	.set _Z11fill_kernelIfZ21hipblaslt_init_deviceIfEv8ABC_dims24hipblaslt_initializationbPT_mmmmmEUlmE8_EvS4_mmT0_.num_vgpr, 4
	.set _Z11fill_kernelIfZ21hipblaslt_init_deviceIfEv8ABC_dims24hipblaslt_initializationbPT_mmmmmEUlmE8_EvS4_mmT0_.num_agpr, 0
	.set _Z11fill_kernelIfZ21hipblaslt_init_deviceIfEv8ABC_dims24hipblaslt_initializationbPT_mmmmmEUlmE8_EvS4_mmT0_.numbered_sgpr, 10
	.set _Z11fill_kernelIfZ21hipblaslt_init_deviceIfEv8ABC_dims24hipblaslt_initializationbPT_mmmmmEUlmE8_EvS4_mmT0_.num_named_barrier, 0
	.set _Z11fill_kernelIfZ21hipblaslt_init_deviceIfEv8ABC_dims24hipblaslt_initializationbPT_mmmmmEUlmE8_EvS4_mmT0_.private_seg_size, 0
	.set _Z11fill_kernelIfZ21hipblaslt_init_deviceIfEv8ABC_dims24hipblaslt_initializationbPT_mmmmmEUlmE8_EvS4_mmT0_.uses_vcc, 0
	.set _Z11fill_kernelIfZ21hipblaslt_init_deviceIfEv8ABC_dims24hipblaslt_initializationbPT_mmmmmEUlmE8_EvS4_mmT0_.uses_flat_scratch, 0
	.set _Z11fill_kernelIfZ21hipblaslt_init_deviceIfEv8ABC_dims24hipblaslt_initializationbPT_mmmmmEUlmE8_EvS4_mmT0_.has_dyn_sized_stack, 0
	.set _Z11fill_kernelIfZ21hipblaslt_init_deviceIfEv8ABC_dims24hipblaslt_initializationbPT_mmmmmEUlmE8_EvS4_mmT0_.has_recursion, 0
	.set _Z11fill_kernelIfZ21hipblaslt_init_deviceIfEv8ABC_dims24hipblaslt_initializationbPT_mmmmmEUlmE8_EvS4_mmT0_.has_indirect_call, 0
	.section	.AMDGPU.csdata,"",@progbits
; Kernel info:
; codeLenInByte = 148
; TotalNumSgprs: 10
; NumVgprs: 4
; ScratchSize: 0
; MemoryBound: 0
; FloatMode: 240
; IeeeMode: 1
; LDSByteSize: 0 bytes/workgroup (compile time only)
; SGPRBlocks: 0
; VGPRBlocks: 0
; NumSGPRsForWavesPerEU: 10
; NumVGPRsForWavesPerEU: 4
; NamedBarCnt: 0
; Occupancy: 16
; WaveLimiterHint : 0
; COMPUTE_PGM_RSRC2:SCRATCH_EN: 0
; COMPUTE_PGM_RSRC2:USER_SGPR: 2
; COMPUTE_PGM_RSRC2:TRAP_HANDLER: 0
; COMPUTE_PGM_RSRC2:TGID_X_EN: 1
; COMPUTE_PGM_RSRC2:TGID_Y_EN: 0
; COMPUTE_PGM_RSRC2:TGID_Z_EN: 0
; COMPUTE_PGM_RSRC2:TIDIG_COMP_CNT: 0
	.section	.text._Z11fill_kernelIfZ21hipblaslt_init_deviceIfEv8ABC_dims24hipblaslt_initializationbPT_mmmmmEUlmE9_EvS4_mmT0_,"axG",@progbits,_Z11fill_kernelIfZ21hipblaslt_init_deviceIfEv8ABC_dims24hipblaslt_initializationbPT_mmmmmEUlmE9_EvS4_mmT0_,comdat
	.protected	_Z11fill_kernelIfZ21hipblaslt_init_deviceIfEv8ABC_dims24hipblaslt_initializationbPT_mmmmmEUlmE9_EvS4_mmT0_ ; -- Begin function _Z11fill_kernelIfZ21hipblaslt_init_deviceIfEv8ABC_dims24hipblaslt_initializationbPT_mmmmmEUlmE9_EvS4_mmT0_
	.globl	_Z11fill_kernelIfZ21hipblaslt_init_deviceIfEv8ABC_dims24hipblaslt_initializationbPT_mmmmmEUlmE9_EvS4_mmT0_
	.p2align	8
	.type	_Z11fill_kernelIfZ21hipblaslt_init_deviceIfEv8ABC_dims24hipblaslt_initializationbPT_mmmmmEUlmE9_EvS4_mmT0_,@function
_Z11fill_kernelIfZ21hipblaslt_init_deviceIfEv8ABC_dims24hipblaslt_initializationbPT_mmmmmEUlmE9_EvS4_mmT0_: ; @_Z11fill_kernelIfZ21hipblaslt_init_deviceIfEv8ABC_dims24hipblaslt_initializationbPT_mmmmmEUlmE9_EvS4_mmT0_
; %bb.0:
	s_clause 0x1
	s_load_b32 s2, s[0:1], 0x2c
	s_load_b128 s[4:7], s[0:1], 0x0
	s_bfe_u32 s3, ttmp6, 0x4000c
	s_and_b32 s8, ttmp6, 15
	s_add_co_i32 s3, s3, 1
	s_getreg_b32 s9, hwreg(HW_REG_IB_STS2, 6, 4)
	s_mul_i32 s3, ttmp9, s3
	v_mov_b32_e32 v1, 0
	s_add_co_i32 s8, s8, s3
	s_wait_kmcnt 0x0
	s_and_b32 s2, s2, 0xffff
	s_cmp_eq_u32 s9, 0
	s_cselect_b32 s3, ttmp9, s8
	s_delay_alu instid0(SALU_CYCLE_1) | instskip(SKIP_1) | instid1(VALU_DEP_1)
	v_mad_u32 v0, s3, s2, v0
	s_mov_b32 s2, exec_lo
	v_cmpx_gt_u64_e64 s[6:7], v[0:1]
	s_cbranch_execz .LBB10_6
; %bb.1:
	s_load_b96 s[0:2], s[0:1], 0x10
	s_wait_kmcnt 0x0
	v_add_nc_u64_e32 v[0:1], s[0:1], v[0:1]
	s_mov_b32 s0, 0xb90ffb1d
	s_delay_alu instid0(VALU_DEP_1) | instskip(NEXT) | instid1(VALU_DEP_1)
	v_add_nc_u32_e32 v2, s2, v0
	v_mad_u32 v3, v2, s0, 0xdc6d3ef
	s_mov_b32 s0, 0x6ab9d291
	s_delay_alu instid0(VALU_DEP_1) | instskip(SKIP_3) | instid1(VALU_DEP_2)
	v_lshrrev_b32_e32 v5, 2, v3
	v_mad_u32 v4, 0x10dcd, v2, 1
	v_mad_u32 v6, v2, s0, 0xdfb3c992
	s_mov_b32 s0, exec_lo
	v_dual_lshlrev_b32 v7, 4, v4 :: v_dual_bitop2_b32 v3, v5, v3 bitop3:0x14
	s_delay_alu instid0(VALU_DEP_1) | instskip(NEXT) | instid1(VALU_DEP_1)
	v_dual_lshlrev_b32 v5, 1, v3 :: v_dual_lshrrev_b32 v8, 2, v6
	v_xor_b32_e32 v6, v8, v6
	s_delay_alu instid0(VALU_DEP_2) | instskip(NEXT) | instid1(VALU_DEP_1)
	v_xor_b32_e32 v5, v7, v5
	v_xor3_b32 v3, v5, v4, v3
	s_delay_alu instid0(VALU_DEP_1) | instskip(NEXT) | instid1(VALU_DEP_1)
	v_dual_lshlrev_b32 v5, 4, v3 :: v_dual_lshlrev_b32 v4, 1, v6
	v_xor_b32_e32 v5, v4, v5
	v_xor_b32_e32 v4, 0x587c5, v2
	s_delay_alu instid0(VALU_DEP_2) | instskip(NEXT) | instid1(VALU_DEP_1)
	v_xor3_b32 v2, v5, v6, v3
                                        ; implicit-def: $vgpr6
                                        ; implicit-def: $vgpr5
	v_add3_u32 v2, v4, v2, 0xb0f8a
	s_delay_alu instid0(VALU_DEP_1) | instskip(NEXT) | instid1(VALU_DEP_1)
	v_cvt_f32_u32_e32 v2, v2
	v_mul_f32_e32 v2, 0x2f800000, v2
	s_delay_alu instid0(VALU_DEP_1) | instskip(NEXT) | instid1(VALU_DEP_1)
	v_mul_f32_e32 v2, 0x40c90fdb, v2
	v_cmpx_ngt_f32_e32 0x48000000, v2
	s_xor_b32 s2, exec_lo, s0
	s_cbranch_execz .LBB10_3
; %bb.2:
	s_mov_b32 s0, 0x7fffff
	v_mov_b32_e32 v7, 0
	v_and_or_b32 v6, v2, s0, 0x800000
	s_mov_b64 s[0:1], 0xfe5163ab
	v_lshrrev_b32_e32 v5, 23, v2
	s_delay_alu instid0(VALU_DEP_2) | instskip(NEXT) | instid1(VALU_DEP_1)
	v_mul_u64_e32 v[8:9], s[0:1], v[6:7]
	v_dual_mov_b32 v10, v9 :: v_dual_mov_b32 v11, v7
	v_dual_mov_b32 v13, v7 :: v_dual_mov_b32 v15, v7
	v_dual_mov_b32 v17, v7 :: v_dual_mov_b32 v21, v7
	s_delay_alu instid0(VALU_DEP_3) | instskip(NEXT) | instid1(VALU_DEP_1)
	v_mad_nc_u64_u32 v[10:11], 0x3c439041, v6, v[10:11]
	v_mov_b32_e32 v12, v11
	s_delay_alu instid0(VALU_DEP_1) | instskip(NEXT) | instid1(VALU_DEP_1)
	v_mad_nc_u64_u32 v[12:13], 0xdb629599, v6, v[12:13]
	v_mov_b32_e32 v14, v13
	s_delay_alu instid0(VALU_DEP_1) | instskip(NEXT) | instid1(VALU_DEP_1)
	;; [unrolled: 3-line block ×3, first 2 shown]
	v_mad_nc_u64_u32 v[16:17], 0xfc2757d1, v6, v[16:17]
	v_dual_mov_b32 v19, v7 :: v_dual_mov_b32 v18, v17
	s_delay_alu instid0(VALU_DEP_1) | instskip(NEXT) | instid1(VALU_DEP_1)
	v_mad_nc_u64_u32 v[18:19], 0x4e441529, v6, v[18:19]
	v_dual_mov_b32 v20, v19 :: v_dual_add_nc_u32 v5, 0xffffff88, v5
	s_delay_alu instid0(VALU_DEP_1) | instskip(NEXT) | instid1(VALU_DEP_2)
	v_cmp_lt_u32_e32 vcc_lo, 63, v5
	v_mad_nc_u64_u32 v[6:7], 0xa2f9836e, v6, v[20:21]
	v_cndmask_b32_e64 v9, 0, 0xffffffc0, vcc_lo
	v_dual_cndmask_b32 v11, v18, v14 :: v_dual_cndmask_b32 v8, v12, v8
	s_delay_alu instid0(VALU_DEP_2) | instskip(NEXT) | instid1(VALU_DEP_1)
	v_add_nc_u32_e32 v5, v9, v5
	v_cmp_lt_u32_e64 s0, 31, v5
	v_dual_cndmask_b32 v6, v6, v16 :: v_dual_cndmask_b32 v7, v7, v18
	s_delay_alu instid0(VALU_DEP_2) | instskip(NEXT) | instid1(VALU_DEP_1)
	v_cndmask_b32_e64 v9, 0, 0xffffffe0, s0
	v_add_nc_u32_e32 v5, v9, v5
	s_delay_alu instid0(VALU_DEP_1) | instskip(NEXT) | instid1(VALU_DEP_1)
	v_cmp_lt_u32_e64 s1, 31, v5
	v_cndmask_b32_e64 v9, 0, 0xffffffe0, s1
	s_delay_alu instid0(VALU_DEP_1) | instskip(SKIP_2) | instid1(VALU_DEP_3)
	v_dual_cndmask_b32 v13, v16, v12, vcc_lo :: v_dual_add_nc_u32 v5, v9, v5
	v_cndmask_b32_e32 v9, v14, v10, vcc_lo
	v_dual_cndmask_b32 v10, v6, v11, s0 :: v_dual_cndmask_b32 v6, v7, v6, s0
	v_cndmask_b32_e64 v7, v11, v13, s0
	s_delay_alu instid0(VALU_DEP_4) | instskip(NEXT) | instid1(VALU_DEP_4)
	v_sub_nc_u32_e32 v11, 32, v5
	v_cndmask_b32_e64 v13, v13, v9, s0
	v_cmp_eq_u32_e32 vcc_lo, 0, v5
	v_cndmask_b32_e64 v6, v6, v10, s1
	s_delay_alu instid0(VALU_DEP_3) | instskip(NEXT) | instid1(VALU_DEP_1)
	v_dual_cndmask_b32 v10, v10, v7, s1 :: v_dual_cndmask_b32 v7, v7, v13, s1
	v_alignbit_b32 v14, v6, v10, v11
	s_delay_alu instid0(VALU_DEP_2) | instskip(NEXT) | instid1(VALU_DEP_2)
	v_alignbit_b32 v12, v10, v7, v11
	v_dual_cndmask_b32 v5, v14, v6, vcc_lo :: v_dual_cndmask_b32 v6, v9, v8, s0
	s_delay_alu instid0(VALU_DEP_1) | instskip(NEXT) | instid1(VALU_DEP_1)
	v_bfe_u32 v9, v5, 29, 1
	v_dual_cndmask_b32 v8, v12, v10, vcc_lo :: v_dual_sub_nc_u32 v12, 0, v9
	s_delay_alu instid0(VALU_DEP_1) | instskip(NEXT) | instid1(VALU_DEP_1)
	v_alignbit_b32 v10, v5, v8, 30
	v_dual_cndmask_b32 v6, v13, v6, s1 :: v_dual_bitop2_b32 v10, v10, v12 bitop3:0x14
	s_delay_alu instid0(VALU_DEP_1) | instskip(NEXT) | instid1(VALU_DEP_1)
	v_alignbit_b32 v11, v7, v6, v11
	v_cndmask_b32_e32 v7, v11, v7, vcc_lo
	s_delay_alu instid0(VALU_DEP_3) | instskip(NEXT) | instid1(VALU_DEP_2)
	v_clz_i32_u32_e32 v11, v10
	v_alignbit_b32 v6, v7, v6, 30
	s_delay_alu instid0(VALU_DEP_2) | instskip(NEXT) | instid1(VALU_DEP_2)
	v_min_u32_e32 v11, 32, v11
	v_xor_b32_e32 v6, v6, v12
	v_alignbit_b32 v8, v8, v7, 30
	s_delay_alu instid0(VALU_DEP_1) | instskip(SKIP_1) | instid1(VALU_DEP_1)
	v_dual_lshlrev_b32 v13, 23, v11 :: v_dual_bitop2_b32 v7, v8, v12 bitop3:0x14
	v_dual_sub_nc_u32 v8, 31, v11 :: v_dual_lshrrev_b32 v12, 29, v5
	v_alignbit_b32 v10, v10, v7, v8
	v_alignbit_b32 v6, v7, v6, v8
	s_delay_alu instid0(VALU_DEP_3) | instskip(NEXT) | instid1(VALU_DEP_2)
	v_lshlrev_b32_e32 v7, 31, v12
	v_alignbit_b32 v8, v10, v6, 9
	s_delay_alu instid0(VALU_DEP_2) | instskip(NEXT) | instid1(VALU_DEP_2)
	v_dual_lshrrev_b32 v10, 9, v10 :: v_dual_bitop2_b32 v12, 0.5, v7 bitop3:0x54
	v_clz_i32_u32_e32 v14, v8
	s_delay_alu instid0(VALU_DEP_2) | instskip(SKIP_1) | instid1(VALU_DEP_3)
	v_sub_nc_u32_e32 v12, v12, v13
	v_or_b32_e32 v7, 0x33000000, v7
	v_min_u32_e32 v13, 32, v14
	s_delay_alu instid0(VALU_DEP_1) | instskip(NEXT) | instid1(VALU_DEP_4)
	v_add_lshl_u32 v11, v13, v11, 23
	v_or_b32_e32 v10, v10, v12
	v_not_b32_e32 v12, v13
	s_delay_alu instid0(VALU_DEP_2) | instskip(NEXT) | instid1(VALU_DEP_2)
	v_dual_mul_f32 v14, 0x3fc90fda, v10 :: v_dual_sub_nc_u32 v7, v7, v11
	v_alignbit_b32 v6, v8, v6, v12
	s_delay_alu instid0(VALU_DEP_2) | instskip(NEXT) | instid1(VALU_DEP_2)
	v_fma_f32 v8, 0x3fc90fda, v10, -v14
	v_lshrrev_b32_e32 v6, 9, v6
	s_delay_alu instid0(VALU_DEP_2) | instskip(NEXT) | instid1(VALU_DEP_2)
	v_fmamk_f32 v8, v10, 0x33a22168, v8
	v_or_b32_e32 v6, v7, v6
	s_delay_alu instid0(VALU_DEP_1) | instskip(NEXT) | instid1(VALU_DEP_1)
	v_fmac_f32_e32 v8, 0x3fc90fda, v6
	v_dual_add_f32 v5, v14, v8 :: v_dual_lshrrev_b32 v6, 30, v5
	s_delay_alu instid0(VALU_DEP_1)
	v_add_nc_u32_e32 v6, v9, v6
.LBB10_3:
	s_and_not1_saveexec_b32 s0, s2
; %bb.4:
	v_mul_f32_e32 v5, 0x3f22f983, v2
	s_delay_alu instid0(VALU_DEP_1) | instskip(NEXT) | instid1(VALU_DEP_1)
	v_rndne_f32_e32 v6, v5
	v_fmamk_f32 v5, v6, 0xbfc90fda, v2
	s_delay_alu instid0(VALU_DEP_1) | instskip(NEXT) | instid1(VALU_DEP_1)
	v_fmamk_f32 v5, v6, 0xb3a22168, v5
	v_fmamk_f32 v5, v6, 0xa7c234c4, v5
	v_cvt_i32_f32_e32 v6, v6
; %bb.5:
	s_or_b32 exec_lo, exec_lo, s0
	v_add3_u32 v3, v4, v3, 0x587c5
	s_mov_b32 s0, 0xb94c1982
	s_mov_b32 s1, 0x37d75334
	v_lshl_add_u64 v[0:1], v[0:1], 2, s[4:5]
	s_delay_alu instid0(VALU_DEP_2) | instskip(NEXT) | instid1(VALU_DEP_1)
	v_cvt_f32_u32_e32 v3, v3
	v_mul_f32_e32 v3, 0x2f800000, v3
	s_delay_alu instid0(VALU_DEP_1) | instskip(SKIP_1) | instid1(VALU_DEP_1)
	v_cmp_ngt_f32_e32 vcc_lo, 0x2edbe6ff, v3
	v_cndmask_b32_e32 v3, 0x2edbe6ff, v3, vcc_lo
	v_cmp_gt_f32_e32 vcc_lo, 0x800000, v3
	v_cndmask_b32_e64 v4, 0, 32, vcc_lo
	v_cndmask_b32_e64 v7, 0, 0x41b17218, vcc_lo
	s_delay_alu instid0(VALU_DEP_2) | instskip(NEXT) | instid1(VALU_DEP_1)
	v_ldexp_f32 v3, v3, v4
	v_log_f32_e32 v3, v3
	v_nop
	s_delay_alu instid0(TRANS32_DEP_1) | instskip(SKIP_1) | instid1(VALU_DEP_2)
	v_mul_f32_e32 v4, 0x3f317217, v3
	v_cmp_gt_f32_e64 vcc_lo, 0x7f800000, |v3|
	v_fma_f32 v4, 0x3f317217, v3, -v4
	s_delay_alu instid0(VALU_DEP_1) | instskip(NEXT) | instid1(VALU_DEP_1)
	v_fmamk_f32 v4, v3, 0x3377d1cf, v4
	v_fmac_f32_e32 v4, 0x3f317217, v3
	s_delay_alu instid0(VALU_DEP_1) | instskip(NEXT) | instid1(VALU_DEP_1)
	v_cndmask_b32_e32 v3, v3, v4, vcc_lo
	v_sub_f32_e32 v3, v3, v7
	s_delay_alu instid0(VALU_DEP_1) | instskip(NEXT) | instid1(VALU_DEP_1)
	v_mul_f32_e32 v3, -2.0, v3
	v_cmp_gt_f32_e32 vcc_lo, 0xf800000, v3
	v_mul_f32_e32 v4, 0x4f800000, v3
	s_delay_alu instid0(VALU_DEP_1) | instskip(NEXT) | instid1(VALU_DEP_1)
	v_dual_cndmask_b32 v3, v3, v4 :: v_dual_mul_f32 v4, v5, v5
	v_sqrt_f32_e32 v7, v3
	s_delay_alu instid0(VALU_DEP_1) | instskip(NEXT) | instid1(TRANS32_DEP_1)
	v_fmaak_f32 v8, s0, v4, 0x3c0881c4
	v_dual_fmaak_f32 v9, s1, v4, 0xbab64f3b :: v_dual_add_nc_u32 v10, -1, v7
	s_delay_alu instid0(VALU_DEP_2) | instskip(NEXT) | instid1(VALU_DEP_1)
	v_dual_fmaak_f32 v8, v4, v8, 0xbe2aaa9d :: v_dual_add_nc_u32 v11, 1, v7
	v_dual_fma_f32 v12, -v10, v7, v3 :: v_dual_fma_f32 v13, -v11, v7, v3
	s_delay_alu instid0(VALU_DEP_2) | instskip(NEXT) | instid1(VALU_DEP_2)
	v_mul_f32_e32 v8, v4, v8
	v_cmp_ge_f32_e64 s0, 0, v12
	s_delay_alu instid0(VALU_DEP_1) | instskip(NEXT) | instid1(VALU_DEP_4)
	v_dual_fmac_f32 v5, v5, v8 :: v_dual_cndmask_b32 v7, v7, v10, s0
	v_cmp_lt_f32_e64 s0, 0, v13
	v_dual_lshlrev_b32 v6, 30, v6 :: v_dual_bitop2_b32 v10, 1, v6 bitop3:0x40
	v_fmaak_f32 v9, v4, v9, 0x3d2aabf7
	s_delay_alu instid0(VALU_DEP_3) | instskip(NEXT) | instid1(VALU_DEP_3)
	v_cndmask_b32_e64 v7, v7, v11, s0
	v_cmp_eq_u32_e64 s0, 0, v10
	s_delay_alu instid0(VALU_DEP_3) | instskip(NEXT) | instid1(VALU_DEP_1)
	v_fmaak_f32 v9, v4, v9, 0xbf000004
	v_fma_f32 v4, v4, v9, 1.0
	s_delay_alu instid0(VALU_DEP_1) | instskip(SKIP_1) | instid1(VALU_DEP_2)
	v_cndmask_b32_e64 v4, -v5, v4, s0
	v_mul_f32_e32 v5, 0x37800000, v7
	v_bitop3_b32 v4, v6, v4, 0x80000000 bitop3:0x6c
	s_delay_alu instid0(VALU_DEP_2) | instskip(SKIP_1) | instid1(VALU_DEP_3)
	v_cndmask_b32_e32 v5, v7, v5, vcc_lo
	v_cmp_lg_f32_e32 vcc_lo, 0x7f800000, v2
	v_cndmask_b32_e32 v2, 0x7fc00000, v4, vcc_lo
	v_cmp_class_f32_e64 vcc_lo, v3, 0x260
	s_delay_alu instid0(VALU_DEP_4) | instskip(NEXT) | instid1(VALU_DEP_1)
	v_cndmask_b32_e32 v3, v5, v3, vcc_lo
	v_mul_f32_e32 v2, v3, v2
	global_store_b32 v[0:1], v2, off
.LBB10_6:
	s_endpgm
	.section	.rodata,"a",@progbits
	.p2align	6, 0x0
	.amdhsa_kernel _Z11fill_kernelIfZ21hipblaslt_init_deviceIfEv8ABC_dims24hipblaslt_initializationbPT_mmmmmEUlmE9_EvS4_mmT0_
		.amdhsa_group_segment_fixed_size 0
		.amdhsa_private_segment_fixed_size 0
		.amdhsa_kernarg_size 288
		.amdhsa_user_sgpr_count 2
		.amdhsa_user_sgpr_dispatch_ptr 0
		.amdhsa_user_sgpr_queue_ptr 0
		.amdhsa_user_sgpr_kernarg_segment_ptr 1
		.amdhsa_user_sgpr_dispatch_id 0
		.amdhsa_user_sgpr_kernarg_preload_length 0
		.amdhsa_user_sgpr_kernarg_preload_offset 0
		.amdhsa_user_sgpr_private_segment_size 0
		.amdhsa_wavefront_size32 1
		.amdhsa_uses_dynamic_stack 0
		.amdhsa_enable_private_segment 0
		.amdhsa_system_sgpr_workgroup_id_x 1
		.amdhsa_system_sgpr_workgroup_id_y 0
		.amdhsa_system_sgpr_workgroup_id_z 0
		.amdhsa_system_sgpr_workgroup_info 0
		.amdhsa_system_vgpr_workitem_id 0
		.amdhsa_next_free_vgpr 22
		.amdhsa_next_free_sgpr 10
		.amdhsa_named_barrier_count 0
		.amdhsa_reserve_vcc 1
		.amdhsa_float_round_mode_32 0
		.amdhsa_float_round_mode_16_64 0
		.amdhsa_float_denorm_mode_32 3
		.amdhsa_float_denorm_mode_16_64 3
		.amdhsa_fp16_overflow 0
		.amdhsa_memory_ordered 1
		.amdhsa_forward_progress 1
		.amdhsa_inst_pref_size 13
		.amdhsa_round_robin_scheduling 0
		.amdhsa_exception_fp_ieee_invalid_op 0
		.amdhsa_exception_fp_denorm_src 0
		.amdhsa_exception_fp_ieee_div_zero 0
		.amdhsa_exception_fp_ieee_overflow 0
		.amdhsa_exception_fp_ieee_underflow 0
		.amdhsa_exception_fp_ieee_inexact 0
		.amdhsa_exception_int_div_zero 0
	.end_amdhsa_kernel
	.section	.text._Z11fill_kernelIfZ21hipblaslt_init_deviceIfEv8ABC_dims24hipblaslt_initializationbPT_mmmmmEUlmE9_EvS4_mmT0_,"axG",@progbits,_Z11fill_kernelIfZ21hipblaslt_init_deviceIfEv8ABC_dims24hipblaslt_initializationbPT_mmmmmEUlmE9_EvS4_mmT0_,comdat
.Lfunc_end10:
	.size	_Z11fill_kernelIfZ21hipblaslt_init_deviceIfEv8ABC_dims24hipblaslt_initializationbPT_mmmmmEUlmE9_EvS4_mmT0_, .Lfunc_end10-_Z11fill_kernelIfZ21hipblaslt_init_deviceIfEv8ABC_dims24hipblaslt_initializationbPT_mmmmmEUlmE9_EvS4_mmT0_
                                        ; -- End function
	.set _Z11fill_kernelIfZ21hipblaslt_init_deviceIfEv8ABC_dims24hipblaslt_initializationbPT_mmmmmEUlmE9_EvS4_mmT0_.num_vgpr, 22
	.set _Z11fill_kernelIfZ21hipblaslt_init_deviceIfEv8ABC_dims24hipblaslt_initializationbPT_mmmmmEUlmE9_EvS4_mmT0_.num_agpr, 0
	.set _Z11fill_kernelIfZ21hipblaslt_init_deviceIfEv8ABC_dims24hipblaslt_initializationbPT_mmmmmEUlmE9_EvS4_mmT0_.numbered_sgpr, 10
	.set _Z11fill_kernelIfZ21hipblaslt_init_deviceIfEv8ABC_dims24hipblaslt_initializationbPT_mmmmmEUlmE9_EvS4_mmT0_.num_named_barrier, 0
	.set _Z11fill_kernelIfZ21hipblaslt_init_deviceIfEv8ABC_dims24hipblaslt_initializationbPT_mmmmmEUlmE9_EvS4_mmT0_.private_seg_size, 0
	.set _Z11fill_kernelIfZ21hipblaslt_init_deviceIfEv8ABC_dims24hipblaslt_initializationbPT_mmmmmEUlmE9_EvS4_mmT0_.uses_vcc, 1
	.set _Z11fill_kernelIfZ21hipblaslt_init_deviceIfEv8ABC_dims24hipblaslt_initializationbPT_mmmmmEUlmE9_EvS4_mmT0_.uses_flat_scratch, 0
	.set _Z11fill_kernelIfZ21hipblaslt_init_deviceIfEv8ABC_dims24hipblaslt_initializationbPT_mmmmmEUlmE9_EvS4_mmT0_.has_dyn_sized_stack, 0
	.set _Z11fill_kernelIfZ21hipblaslt_init_deviceIfEv8ABC_dims24hipblaslt_initializationbPT_mmmmmEUlmE9_EvS4_mmT0_.has_recursion, 0
	.set _Z11fill_kernelIfZ21hipblaslt_init_deviceIfEv8ABC_dims24hipblaslt_initializationbPT_mmmmmEUlmE9_EvS4_mmT0_.has_indirect_call, 0
	.section	.AMDGPU.csdata,"",@progbits
; Kernel info:
; codeLenInByte = 1584
; TotalNumSgprs: 12
; NumVgprs: 22
; ScratchSize: 0
; MemoryBound: 0
; FloatMode: 240
; IeeeMode: 1
; LDSByteSize: 0 bytes/workgroup (compile time only)
; SGPRBlocks: 0
; VGPRBlocks: 1
; NumSGPRsForWavesPerEU: 12
; NumVGPRsForWavesPerEU: 22
; NamedBarCnt: 0
; Occupancy: 16
; WaveLimiterHint : 0
; COMPUTE_PGM_RSRC2:SCRATCH_EN: 0
; COMPUTE_PGM_RSRC2:USER_SGPR: 2
; COMPUTE_PGM_RSRC2:TRAP_HANDLER: 0
; COMPUTE_PGM_RSRC2:TGID_X_EN: 1
; COMPUTE_PGM_RSRC2:TGID_Y_EN: 0
; COMPUTE_PGM_RSRC2:TGID_Z_EN: 0
; COMPUTE_PGM_RSRC2:TIDIG_COMP_CNT: 0
	.section	.text._Z11fill_kernelIdZ21hipblaslt_init_deviceIdEv8ABC_dims24hipblaslt_initializationbPT_mmmmmEUlmE_EvS4_mmT0_,"axG",@progbits,_Z11fill_kernelIdZ21hipblaslt_init_deviceIdEv8ABC_dims24hipblaslt_initializationbPT_mmmmmEUlmE_EvS4_mmT0_,comdat
	.protected	_Z11fill_kernelIdZ21hipblaslt_init_deviceIdEv8ABC_dims24hipblaslt_initializationbPT_mmmmmEUlmE_EvS4_mmT0_ ; -- Begin function _Z11fill_kernelIdZ21hipblaslt_init_deviceIdEv8ABC_dims24hipblaslt_initializationbPT_mmmmmEUlmE_EvS4_mmT0_
	.globl	_Z11fill_kernelIdZ21hipblaslt_init_deviceIdEv8ABC_dims24hipblaslt_initializationbPT_mmmmmEUlmE_EvS4_mmT0_
	.p2align	8
	.type	_Z11fill_kernelIdZ21hipblaslt_init_deviceIdEv8ABC_dims24hipblaslt_initializationbPT_mmmmmEUlmE_EvS4_mmT0_,@function
_Z11fill_kernelIdZ21hipblaslt_init_deviceIdEv8ABC_dims24hipblaslt_initializationbPT_mmmmmEUlmE_EvS4_mmT0_: ; @_Z11fill_kernelIdZ21hipblaslt_init_deviceIdEv8ABC_dims24hipblaslt_initializationbPT_mmmmmEUlmE_EvS4_mmT0_
; %bb.0:
	s_clause 0x1
	s_load_b32 s2, s[0:1], 0x344
	s_load_b128 s[4:7], s[0:1], 0x0
	s_bfe_u32 s3, ttmp6, 0x4000c
	s_and_b32 s8, ttmp6, 15
	s_add_co_i32 s3, s3, 1
	s_getreg_b32 s9, hwreg(HW_REG_IB_STS2, 6, 4)
	s_mul_i32 s3, ttmp9, s3
	v_mov_b32_e32 v1, 0
	s_add_co_i32 s8, s8, s3
	s_wait_kmcnt 0x0
	s_and_b32 s2, s2, 0xffff
	s_cmp_eq_u32 s9, 0
	s_cselect_b32 s3, ttmp9, s8
	s_delay_alu instid0(SALU_CYCLE_1) | instskip(SKIP_1) | instid1(VALU_DEP_1)
	v_mad_u32 v0, s3, s2, v0
	s_mov_b32 s2, exec_lo
	v_cmpx_gt_u64_e64 s[6:7], v[0:1]
	s_cbranch_execz .LBB11_2
; %bb.1:
	s_load_b64 s[2:3], s[0:1], 0x10
	s_wait_kmcnt 0x0
	v_add_nc_u64_e32 v[0:1], s[2:3], v[0:1]
	s_mov_b32 s2, 0x19660d
	s_delay_alu instid0(VALU_DEP_1) | instid1(SALU_CYCLE_1)
	v_mad_nc_u64_u32 v[2:3], v0, s2, 0x3c6ef35f
	s_delay_alu instid0(VALU_DEP_1) | instskip(SKIP_1) | instid1(VALU_DEP_2)
	v_mad_u32 v3, 0x19660d, v1, v3
	v_lshl_add_u64 v[0:1], v[0:1], 3, s[4:5]
	v_lshlrev_b64_e32 v[4:5], 13, v[2:3]
	s_delay_alu instid0(VALU_DEP_1) | instskip(NEXT) | instid1(VALU_DEP_2)
	v_xor_b32_e32 v3, v5, v3
	v_xor_b32_e32 v2, v4, v2
	s_delay_alu instid0(VALU_DEP_1) | instskip(NEXT) | instid1(VALU_DEP_1)
	v_lshrrev_b64 v[4:5], 17, v[2:3]
	v_xor_b32_e32 v3, v5, v3
	s_delay_alu instid0(VALU_DEP_2) | instskip(NEXT) | instid1(VALU_DEP_1)
	v_xor_b32_e32 v2, v4, v2
	v_lshlrev_b64_e32 v[4:5], 5, v[2:3]
	s_delay_alu instid0(VALU_DEP_1) | instskip(NEXT) | instid1(VALU_DEP_2)
	v_xor_b32_e32 v3, v5, v3
	v_xor_b32_e32 v2, v4, v2
	s_delay_alu instid0(VALU_DEP_1) | instskip(NEXT) | instid1(VALU_DEP_1)
	v_lshlrev_b64_e32 v[4:5], 13, v[2:3]
	v_xor_b32_e32 v3, v5, v3
	s_delay_alu instid0(VALU_DEP_2) | instskip(NEXT) | instid1(VALU_DEP_1)
	v_xor_b32_e32 v2, v4, v2
	v_lshrrev_b64 v[4:5], 17, v[2:3]
	s_delay_alu instid0(VALU_DEP_1) | instskip(NEXT) | instid1(VALU_DEP_2)
	v_xor_b32_e32 v3, v5, v3
	v_xor_b32_e32 v2, v4, v2
	s_delay_alu instid0(VALU_DEP_1) | instskip(NEXT) | instid1(VALU_DEP_1)
	v_lshlrev_b64_e32 v[4:5], 5, v[2:3]
	v_xor_b32_e32 v3, v5, v3
	s_delay_alu instid0(VALU_DEP_2) | instskip(NEXT) | instid1(VALU_DEP_1)
	v_xor_b32_e32 v2, v4, v2
	v_lshlrev_b64_e32 v[4:5], 13, v[2:3]
	s_delay_alu instid0(VALU_DEP_1) | instskip(NEXT) | instid1(VALU_DEP_2)
	v_xor_b32_e32 v3, v5, v3
	v_xor_b32_e32 v2, v4, v2
	s_delay_alu instid0(VALU_DEP_1) | instskip(NEXT) | instid1(VALU_DEP_1)
	v_alignbit_b32 v3, v3, v2, 17
	v_xor_b32_e32 v2, v3, v2
	s_delay_alu instid0(VALU_DEP_1) | instskip(NEXT) | instid1(VALU_DEP_1)
	v_lshlrev_b32_e32 v3, 5, v2
	v_xor_b32_e32 v2, v3, v2
	s_delay_alu instid0(VALU_DEP_1) | instskip(NEXT) | instid1(VALU_DEP_1)
	v_mul_hi_u32 v3, 0x51eb851f, v2
	v_lshrrev_b32_e32 v3, 5, v3
	s_delay_alu instid0(VALU_DEP_1) | instskip(NEXT) | instid1(VALU_DEP_1)
	v_mul_lo_u32 v3, 0x64, v3
	v_sub_nc_u32_e32 v2, v2, v3
	global_load_b64 v[2:3], v2, s[0:1] offset:24 scale_offset
	s_wait_loadcnt 0x0
	global_store_b64 v[0:1], v[2:3], off
.LBB11_2:
	s_endpgm
	.section	.rodata,"a",@progbits
	.p2align	6, 0x0
	.amdhsa_kernel _Z11fill_kernelIdZ21hipblaslt_init_deviceIdEv8ABC_dims24hipblaslt_initializationbPT_mmmmmEUlmE_EvS4_mmT0_
		.amdhsa_group_segment_fixed_size 0
		.amdhsa_private_segment_fixed_size 0
		.amdhsa_kernarg_size 1080
		.amdhsa_user_sgpr_count 2
		.amdhsa_user_sgpr_dispatch_ptr 0
		.amdhsa_user_sgpr_queue_ptr 0
		.amdhsa_user_sgpr_kernarg_segment_ptr 1
		.amdhsa_user_sgpr_dispatch_id 0
		.amdhsa_user_sgpr_kernarg_preload_length 0
		.amdhsa_user_sgpr_kernarg_preload_offset 0
		.amdhsa_user_sgpr_private_segment_size 0
		.amdhsa_wavefront_size32 1
		.amdhsa_uses_dynamic_stack 0
		.amdhsa_enable_private_segment 0
		.amdhsa_system_sgpr_workgroup_id_x 1
		.amdhsa_system_sgpr_workgroup_id_y 0
		.amdhsa_system_sgpr_workgroup_id_z 0
		.amdhsa_system_sgpr_workgroup_info 0
		.amdhsa_system_vgpr_workitem_id 0
		.amdhsa_next_free_vgpr 6
		.amdhsa_next_free_sgpr 10
		.amdhsa_named_barrier_count 0
		.amdhsa_reserve_vcc 0
		.amdhsa_float_round_mode_32 0
		.amdhsa_float_round_mode_16_64 0
		.amdhsa_float_denorm_mode_32 3
		.amdhsa_float_denorm_mode_16_64 3
		.amdhsa_fp16_overflow 0
		.amdhsa_memory_ordered 1
		.amdhsa_forward_progress 1
		.amdhsa_inst_pref_size 4
		.amdhsa_round_robin_scheduling 0
		.amdhsa_exception_fp_ieee_invalid_op 0
		.amdhsa_exception_fp_denorm_src 0
		.amdhsa_exception_fp_ieee_div_zero 0
		.amdhsa_exception_fp_ieee_overflow 0
		.amdhsa_exception_fp_ieee_underflow 0
		.amdhsa_exception_fp_ieee_inexact 0
		.amdhsa_exception_int_div_zero 0
	.end_amdhsa_kernel
	.section	.text._Z11fill_kernelIdZ21hipblaslt_init_deviceIdEv8ABC_dims24hipblaslt_initializationbPT_mmmmmEUlmE_EvS4_mmT0_,"axG",@progbits,_Z11fill_kernelIdZ21hipblaslt_init_deviceIdEv8ABC_dims24hipblaslt_initializationbPT_mmmmmEUlmE_EvS4_mmT0_,comdat
.Lfunc_end11:
	.size	_Z11fill_kernelIdZ21hipblaslt_init_deviceIdEv8ABC_dims24hipblaslt_initializationbPT_mmmmmEUlmE_EvS4_mmT0_, .Lfunc_end11-_Z11fill_kernelIdZ21hipblaslt_init_deviceIdEv8ABC_dims24hipblaslt_initializationbPT_mmmmmEUlmE_EvS4_mmT0_
                                        ; -- End function
	.set _Z11fill_kernelIdZ21hipblaslt_init_deviceIdEv8ABC_dims24hipblaslt_initializationbPT_mmmmmEUlmE_EvS4_mmT0_.num_vgpr, 6
	.set _Z11fill_kernelIdZ21hipblaslt_init_deviceIdEv8ABC_dims24hipblaslt_initializationbPT_mmmmmEUlmE_EvS4_mmT0_.num_agpr, 0
	.set _Z11fill_kernelIdZ21hipblaslt_init_deviceIdEv8ABC_dims24hipblaslt_initializationbPT_mmmmmEUlmE_EvS4_mmT0_.numbered_sgpr, 10
	.set _Z11fill_kernelIdZ21hipblaslt_init_deviceIdEv8ABC_dims24hipblaslt_initializationbPT_mmmmmEUlmE_EvS4_mmT0_.num_named_barrier, 0
	.set _Z11fill_kernelIdZ21hipblaslt_init_deviceIdEv8ABC_dims24hipblaslt_initializationbPT_mmmmmEUlmE_EvS4_mmT0_.private_seg_size, 0
	.set _Z11fill_kernelIdZ21hipblaslt_init_deviceIdEv8ABC_dims24hipblaslt_initializationbPT_mmmmmEUlmE_EvS4_mmT0_.uses_vcc, 0
	.set _Z11fill_kernelIdZ21hipblaslt_init_deviceIdEv8ABC_dims24hipblaslt_initializationbPT_mmmmmEUlmE_EvS4_mmT0_.uses_flat_scratch, 0
	.set _Z11fill_kernelIdZ21hipblaslt_init_deviceIdEv8ABC_dims24hipblaslt_initializationbPT_mmmmmEUlmE_EvS4_mmT0_.has_dyn_sized_stack, 0
	.set _Z11fill_kernelIdZ21hipblaslt_init_deviceIdEv8ABC_dims24hipblaslt_initializationbPT_mmmmmEUlmE_EvS4_mmT0_.has_recursion, 0
	.set _Z11fill_kernelIdZ21hipblaslt_init_deviceIdEv8ABC_dims24hipblaslt_initializationbPT_mmmmmEUlmE_EvS4_mmT0_.has_indirect_call, 0
	.section	.AMDGPU.csdata,"",@progbits
; Kernel info:
; codeLenInByte = 396
; TotalNumSgprs: 10
; NumVgprs: 6
; ScratchSize: 0
; MemoryBound: 0
; FloatMode: 240
; IeeeMode: 1
; LDSByteSize: 0 bytes/workgroup (compile time only)
; SGPRBlocks: 0
; VGPRBlocks: 0
; NumSGPRsForWavesPerEU: 10
; NumVGPRsForWavesPerEU: 6
; NamedBarCnt: 0
; Occupancy: 16
; WaveLimiterHint : 0
; COMPUTE_PGM_RSRC2:SCRATCH_EN: 0
; COMPUTE_PGM_RSRC2:USER_SGPR: 2
; COMPUTE_PGM_RSRC2:TRAP_HANDLER: 0
; COMPUTE_PGM_RSRC2:TGID_X_EN: 1
; COMPUTE_PGM_RSRC2:TGID_Y_EN: 0
; COMPUTE_PGM_RSRC2:TGID_Z_EN: 0
; COMPUTE_PGM_RSRC2:TIDIG_COMP_CNT: 0
	.section	.text._Z11fill_kernelIdZ21hipblaslt_init_deviceIdEv8ABC_dims24hipblaslt_initializationbPT_mmmmmEUlmE0_EvS4_mmT0_,"axG",@progbits,_Z11fill_kernelIdZ21hipblaslt_init_deviceIdEv8ABC_dims24hipblaslt_initializationbPT_mmmmmEUlmE0_EvS4_mmT0_,comdat
	.protected	_Z11fill_kernelIdZ21hipblaslt_init_deviceIdEv8ABC_dims24hipblaslt_initializationbPT_mmmmmEUlmE0_EvS4_mmT0_ ; -- Begin function _Z11fill_kernelIdZ21hipblaslt_init_deviceIdEv8ABC_dims24hipblaslt_initializationbPT_mmmmmEUlmE0_EvS4_mmT0_
	.globl	_Z11fill_kernelIdZ21hipblaslt_init_deviceIdEv8ABC_dims24hipblaslt_initializationbPT_mmmmmEUlmE0_EvS4_mmT0_
	.p2align	8
	.type	_Z11fill_kernelIdZ21hipblaslt_init_deviceIdEv8ABC_dims24hipblaslt_initializationbPT_mmmmmEUlmE0_EvS4_mmT0_,@function
_Z11fill_kernelIdZ21hipblaslt_init_deviceIdEv8ABC_dims24hipblaslt_initializationbPT_mmmmmEUlmE0_EvS4_mmT0_: ; @_Z11fill_kernelIdZ21hipblaslt_init_deviceIdEv8ABC_dims24hipblaslt_initializationbPT_mmmmmEUlmE0_EvS4_mmT0_
; %bb.0:
	s_clause 0x1
	s_load_b32 s2, s[0:1], 0x2c
	s_load_b128 s[4:7], s[0:1], 0x0
	s_bfe_u32 s3, ttmp6, 0x4000c
	s_and_b32 s8, ttmp6, 15
	s_add_co_i32 s3, s3, 1
	s_getreg_b32 s9, hwreg(HW_REG_IB_STS2, 6, 4)
	s_mul_i32 s3, ttmp9, s3
	v_mov_b32_e32 v1, 0
	s_add_co_i32 s8, s8, s3
	s_wait_kmcnt 0x0
	s_and_b32 s2, s2, 0xffff
	s_cmp_eq_u32 s9, 0
	s_cselect_b32 s3, ttmp9, s8
	s_delay_alu instid0(SALU_CYCLE_1) | instskip(SKIP_1) | instid1(VALU_DEP_1)
	v_mad_u32 v0, s3, s2, v0
	s_mov_b32 s2, exec_lo
	v_cmpx_gt_u64_e64 s[6:7], v[0:1]
	s_cbranch_execz .LBB12_2
; %bb.1:
	s_load_b64 s[0:1], s[0:1], 0x10
	s_wait_kmcnt 0x0
	v_add_nc_u64_e32 v[0:1], s[0:1], v[0:1]
	s_mov_b32 s0, 0x19660d
	s_delay_alu instid0(VALU_DEP_1) | instid1(SALU_CYCLE_1)
	v_mad_nc_u64_u32 v[2:3], v0, s0, 0x3c6ef35f
	s_delay_alu instid0(VALU_DEP_1) | instskip(SKIP_1) | instid1(VALU_DEP_2)
	v_mad_u32 v3, 0x19660d, v1, v3
	v_lshl_add_u64 v[0:1], v[0:1], 3, s[4:5]
	v_lshlrev_b64_e32 v[4:5], 13, v[2:3]
	s_delay_alu instid0(VALU_DEP_1) | instskip(NEXT) | instid1(VALU_DEP_2)
	v_xor_b32_e32 v3, v5, v3
	v_xor_b32_e32 v2, v4, v2
	s_delay_alu instid0(VALU_DEP_1) | instskip(NEXT) | instid1(VALU_DEP_1)
	v_lshrrev_b64 v[4:5], 17, v[2:3]
	v_xor_b32_e32 v3, v5, v3
	s_delay_alu instid0(VALU_DEP_2) | instskip(NEXT) | instid1(VALU_DEP_1)
	v_xor_b32_e32 v2, v4, v2
	v_lshlrev_b64_e32 v[4:5], 5, v[2:3]
	s_delay_alu instid0(VALU_DEP_1) | instskip(NEXT) | instid1(VALU_DEP_2)
	v_xor_b32_e32 v3, v5, v3
	v_xor_b32_e32 v2, v4, v2
	s_delay_alu instid0(VALU_DEP_1) | instskip(NEXT) | instid1(VALU_DEP_1)
	v_lshlrev_b64_e32 v[4:5], 13, v[2:3]
	v_xor_b32_e32 v3, v5, v3
	s_delay_alu instid0(VALU_DEP_2) | instskip(NEXT) | instid1(VALU_DEP_1)
	v_xor_b32_e32 v2, v4, v2
	v_lshrrev_b64 v[4:5], 17, v[2:3]
	s_delay_alu instid0(VALU_DEP_1) | instskip(NEXT) | instid1(VALU_DEP_2)
	v_xor_b32_e32 v3, v5, v3
	v_xor_b32_e32 v2, v4, v2
	s_delay_alu instid0(VALU_DEP_1) | instskip(NEXT) | instid1(VALU_DEP_1)
	v_lshlrev_b64_e32 v[4:5], 5, v[2:3]
	v_xor_b32_e32 v3, v5, v3
	s_delay_alu instid0(VALU_DEP_2) | instskip(NEXT) | instid1(VALU_DEP_1)
	v_xor_b32_e32 v2, v4, v2
	v_lshlrev_b64_e32 v[4:5], 13, v[2:3]
	s_delay_alu instid0(VALU_DEP_1) | instskip(NEXT) | instid1(VALU_DEP_2)
	v_xor_b32_e32 v3, v5, v3
	v_xor_b32_e32 v2, v4, v2
	s_delay_alu instid0(VALU_DEP_1) | instskip(NEXT) | instid1(VALU_DEP_1)
	v_alignbit_b32 v3, v3, v2, 17
	v_xor_b32_e32 v2, v3, v2
	s_delay_alu instid0(VALU_DEP_1) | instskip(NEXT) | instid1(VALU_DEP_1)
	v_lshlrev_b32_e32 v3, 5, v2
	v_xor_b32_e32 v2, v3, v2
	s_delay_alu instid0(VALU_DEP_1) | instskip(NEXT) | instid1(VALU_DEP_1)
	v_mul_hi_u32 v3, 0xcccccccd, v2
	v_lshrrev_b32_e32 v3, 3, v3
	s_delay_alu instid0(VALU_DEP_1) | instskip(NEXT) | instid1(VALU_DEP_1)
	v_mul_lo_u32 v3, v3, 10
	v_sub_nc_u32_e32 v2, v2, v3
	s_delay_alu instid0(VALU_DEP_1) | instskip(NEXT) | instid1(VALU_DEP_1)
	v_add_nc_u32_e32 v2, 1, v2
	v_cvt_f64_u32_e32 v[2:3], v2
	global_store_b64 v[0:1], v[2:3], off
.LBB12_2:
	s_endpgm
	.section	.rodata,"a",@progbits
	.p2align	6, 0x0
	.amdhsa_kernel _Z11fill_kernelIdZ21hipblaslt_init_deviceIdEv8ABC_dims24hipblaslt_initializationbPT_mmmmmEUlmE0_EvS4_mmT0_
		.amdhsa_group_segment_fixed_size 0
		.amdhsa_private_segment_fixed_size 0
		.amdhsa_kernarg_size 288
		.amdhsa_user_sgpr_count 2
		.amdhsa_user_sgpr_dispatch_ptr 0
		.amdhsa_user_sgpr_queue_ptr 0
		.amdhsa_user_sgpr_kernarg_segment_ptr 1
		.amdhsa_user_sgpr_dispatch_id 0
		.amdhsa_user_sgpr_kernarg_preload_length 0
		.amdhsa_user_sgpr_kernarg_preload_offset 0
		.amdhsa_user_sgpr_private_segment_size 0
		.amdhsa_wavefront_size32 1
		.amdhsa_uses_dynamic_stack 0
		.amdhsa_enable_private_segment 0
		.amdhsa_system_sgpr_workgroup_id_x 1
		.amdhsa_system_sgpr_workgroup_id_y 0
		.amdhsa_system_sgpr_workgroup_id_z 0
		.amdhsa_system_sgpr_workgroup_info 0
		.amdhsa_system_vgpr_workitem_id 0
		.amdhsa_next_free_vgpr 6
		.amdhsa_next_free_sgpr 10
		.amdhsa_named_barrier_count 0
		.amdhsa_reserve_vcc 0
		.amdhsa_float_round_mode_32 0
		.amdhsa_float_round_mode_16_64 0
		.amdhsa_float_denorm_mode_32 3
		.amdhsa_float_denorm_mode_16_64 3
		.amdhsa_fp16_overflow 0
		.amdhsa_memory_ordered 1
		.amdhsa_forward_progress 1
		.amdhsa_inst_pref_size 4
		.amdhsa_round_robin_scheduling 0
		.amdhsa_exception_fp_ieee_invalid_op 0
		.amdhsa_exception_fp_denorm_src 0
		.amdhsa_exception_fp_ieee_div_zero 0
		.amdhsa_exception_fp_ieee_overflow 0
		.amdhsa_exception_fp_ieee_underflow 0
		.amdhsa_exception_fp_ieee_inexact 0
		.amdhsa_exception_int_div_zero 0
	.end_amdhsa_kernel
	.section	.text._Z11fill_kernelIdZ21hipblaslt_init_deviceIdEv8ABC_dims24hipblaslt_initializationbPT_mmmmmEUlmE0_EvS4_mmT0_,"axG",@progbits,_Z11fill_kernelIdZ21hipblaslt_init_deviceIdEv8ABC_dims24hipblaslt_initializationbPT_mmmmmEUlmE0_EvS4_mmT0_,comdat
.Lfunc_end12:
	.size	_Z11fill_kernelIdZ21hipblaslt_init_deviceIdEv8ABC_dims24hipblaslt_initializationbPT_mmmmmEUlmE0_EvS4_mmT0_, .Lfunc_end12-_Z11fill_kernelIdZ21hipblaslt_init_deviceIdEv8ABC_dims24hipblaslt_initializationbPT_mmmmmEUlmE0_EvS4_mmT0_
                                        ; -- End function
	.set _Z11fill_kernelIdZ21hipblaslt_init_deviceIdEv8ABC_dims24hipblaslt_initializationbPT_mmmmmEUlmE0_EvS4_mmT0_.num_vgpr, 6
	.set _Z11fill_kernelIdZ21hipblaslt_init_deviceIdEv8ABC_dims24hipblaslt_initializationbPT_mmmmmEUlmE0_EvS4_mmT0_.num_agpr, 0
	.set _Z11fill_kernelIdZ21hipblaslt_init_deviceIdEv8ABC_dims24hipblaslt_initializationbPT_mmmmmEUlmE0_EvS4_mmT0_.numbered_sgpr, 10
	.set _Z11fill_kernelIdZ21hipblaslt_init_deviceIdEv8ABC_dims24hipblaslt_initializationbPT_mmmmmEUlmE0_EvS4_mmT0_.num_named_barrier, 0
	.set _Z11fill_kernelIdZ21hipblaslt_init_deviceIdEv8ABC_dims24hipblaslt_initializationbPT_mmmmmEUlmE0_EvS4_mmT0_.private_seg_size, 0
	.set _Z11fill_kernelIdZ21hipblaslt_init_deviceIdEv8ABC_dims24hipblaslt_initializationbPT_mmmmmEUlmE0_EvS4_mmT0_.uses_vcc, 0
	.set _Z11fill_kernelIdZ21hipblaslt_init_deviceIdEv8ABC_dims24hipblaslt_initializationbPT_mmmmmEUlmE0_EvS4_mmT0_.uses_flat_scratch, 0
	.set _Z11fill_kernelIdZ21hipblaslt_init_deviceIdEv8ABC_dims24hipblaslt_initializationbPT_mmmmmEUlmE0_EvS4_mmT0_.has_dyn_sized_stack, 0
	.set _Z11fill_kernelIdZ21hipblaslt_init_deviceIdEv8ABC_dims24hipblaslt_initializationbPT_mmmmmEUlmE0_EvS4_mmT0_.has_recursion, 0
	.set _Z11fill_kernelIdZ21hipblaslt_init_deviceIdEv8ABC_dims24hipblaslt_initializationbPT_mmmmmEUlmE0_EvS4_mmT0_.has_indirect_call, 0
	.section	.AMDGPU.csdata,"",@progbits
; Kernel info:
; codeLenInByte = 388
; TotalNumSgprs: 10
; NumVgprs: 6
; ScratchSize: 0
; MemoryBound: 0
; FloatMode: 240
; IeeeMode: 1
; LDSByteSize: 0 bytes/workgroup (compile time only)
; SGPRBlocks: 0
; VGPRBlocks: 0
; NumSGPRsForWavesPerEU: 10
; NumVGPRsForWavesPerEU: 6
; NamedBarCnt: 0
; Occupancy: 16
; WaveLimiterHint : 0
; COMPUTE_PGM_RSRC2:SCRATCH_EN: 0
; COMPUTE_PGM_RSRC2:USER_SGPR: 2
; COMPUTE_PGM_RSRC2:TRAP_HANDLER: 0
; COMPUTE_PGM_RSRC2:TGID_X_EN: 1
; COMPUTE_PGM_RSRC2:TGID_Y_EN: 0
; COMPUTE_PGM_RSRC2:TGID_Z_EN: 0
; COMPUTE_PGM_RSRC2:TIDIG_COMP_CNT: 0
	.section	.text._Z11fill_kernelIdZ21hipblaslt_init_deviceIdEv8ABC_dims24hipblaslt_initializationbPT_mmmmmEUlmE1_EvS4_mmT0_,"axG",@progbits,_Z11fill_kernelIdZ21hipblaslt_init_deviceIdEv8ABC_dims24hipblaslt_initializationbPT_mmmmmEUlmE1_EvS4_mmT0_,comdat
	.protected	_Z11fill_kernelIdZ21hipblaslt_init_deviceIdEv8ABC_dims24hipblaslt_initializationbPT_mmmmmEUlmE1_EvS4_mmT0_ ; -- Begin function _Z11fill_kernelIdZ21hipblaslt_init_deviceIdEv8ABC_dims24hipblaslt_initializationbPT_mmmmmEUlmE1_EvS4_mmT0_
	.globl	_Z11fill_kernelIdZ21hipblaslt_init_deviceIdEv8ABC_dims24hipblaslt_initializationbPT_mmmmmEUlmE1_EvS4_mmT0_
	.p2align	8
	.type	_Z11fill_kernelIdZ21hipblaslt_init_deviceIdEv8ABC_dims24hipblaslt_initializationbPT_mmmmmEUlmE1_EvS4_mmT0_,@function
_Z11fill_kernelIdZ21hipblaslt_init_deviceIdEv8ABC_dims24hipblaslt_initializationbPT_mmmmmEUlmE1_EvS4_mmT0_: ; @_Z11fill_kernelIdZ21hipblaslt_init_deviceIdEv8ABC_dims24hipblaslt_initializationbPT_mmmmmEUlmE1_EvS4_mmT0_
; %bb.0:
	s_clause 0x1
	s_load_b32 s2, s[0:1], 0x34
	s_load_b128 s[4:7], s[0:1], 0x0
	s_bfe_u32 s3, ttmp6, 0x4000c
	s_and_b32 s8, ttmp6, 15
	s_add_co_i32 s3, s3, 1
	s_getreg_b32 s9, hwreg(HW_REG_IB_STS2, 6, 4)
	s_mul_i32 s3, ttmp9, s3
	v_mov_b32_e32 v3, 0
	s_add_co_i32 s8, s8, s3
	s_wait_kmcnt 0x0
	s_and_b32 s2, s2, 0xffff
	s_cmp_eq_u32 s9, 0
	s_cselect_b32 s3, ttmp9, s8
	s_delay_alu instid0(SALU_CYCLE_1) | instskip(SKIP_1) | instid1(VALU_DEP_1)
	v_mad_u32 v2, s3, s2, v0
	s_mov_b32 s2, exec_lo
	v_cmpx_gt_u64_e64 s[6:7], v[2:3]
	s_cbranch_execz .LBB13_10
; %bb.1:
	s_clause 0x1
	s_load_b64 s[2:3], s[0:1], 0x10
	s_load_b128 s[8:11], s[0:1], 0x18
	s_wait_xcnt 0x0
	s_mov_b32 s0, exec_lo
	v_mov_b32_e32 v4, v3
	s_wait_kmcnt 0x0
	v_add_nc_u64_e32 v[0:1], s[2:3], v[2:3]
                                        ; implicit-def: $vgpr2_vgpr3
	s_delay_alu instid0(VALU_DEP_1) | instskip(NEXT) | instid1(VALU_DEP_1)
	v_or_b32_e32 v5, s9, v1
	v_cmpx_ne_u64_e32 0, v[4:5]
	s_xor_b32 s1, exec_lo, s0
	s_cbranch_execz .LBB13_3
; %bb.2:
	s_cvt_f32_u32 s0, s8
	s_cvt_f32_u32 s2, s9
	s_sub_nc_u64 s[6:7], 0, s[8:9]
	s_mov_b32 s15, 0
	v_dual_mov_b32 v3, 0 :: v_dual_mov_b32 v2, v0
	s_fmamk_f32 s0, s2, 0x4f800000, s0
	s_delay_alu instid0(SALU_CYCLE_3) | instskip(NEXT) | instid1(TRANS32_DEP_1)
	v_s_rcp_f32 s0, s0
	s_mul_f32 s0, s0, 0x5f7ffffc
	s_delay_alu instid0(SALU_CYCLE_3) | instskip(NEXT) | instid1(SALU_CYCLE_3)
	s_mul_f32 s2, s0, 0x2f800000
	s_trunc_f32 s2, s2
	s_delay_alu instid0(SALU_CYCLE_3) | instskip(SKIP_1) | instid1(SALU_CYCLE_2)
	s_fmamk_f32 s0, s2, 0xcf800000, s0
	s_cvt_u32_f32 s3, s2
	s_cvt_u32_f32 s2, s0
	s_delay_alu instid0(SALU_CYCLE_3) | instskip(NEXT) | instid1(SALU_CYCLE_1)
	s_mul_u64 s[12:13], s[6:7], s[2:3]
	s_mul_hi_u32 s17, s2, s13
	s_mul_i32 s16, s2, s13
	s_mul_hi_u32 s14, s2, s12
	s_mul_i32 s18, s3, s12
	s_add_nc_u64 s[16:17], s[14:15], s[16:17]
	s_mul_hi_u32 s0, s3, s12
	s_mul_hi_u32 s19, s3, s13
	s_mul_i32 s12, s3, s13
	s_add_co_u32 s13, s16, s18
	s_add_co_ci_u32 s14, s17, s0
	s_add_co_ci_u32 s13, s19, 0
	s_delay_alu instid0(SALU_CYCLE_1) | instskip(NEXT) | instid1(SALU_CYCLE_1)
	s_add_nc_u64 s[12:13], s[14:15], s[12:13]
	s_add_co_u32 s2, s2, s12
	s_cselect_b32 s0, -1, 0
	s_delay_alu instid0(SALU_CYCLE_1) | instskip(SKIP_1) | instid1(SALU_CYCLE_1)
	s_cmp_lg_u32 s0, 0
	s_add_co_ci_u32 s3, s3, s13
	s_mul_u64 s[6:7], s[6:7], s[2:3]
	s_delay_alu instid0(SALU_CYCLE_1)
	s_mul_hi_u32 s13, s2, s7
	s_mul_i32 s12, s2, s7
	s_mul_hi_u32 s14, s2, s6
	s_mul_i32 s16, s3, s6
	s_add_nc_u64 s[12:13], s[14:15], s[12:13]
	s_mul_hi_u32 s0, s3, s6
	s_mul_hi_u32 s17, s3, s7
	s_mul_i32 s6, s3, s7
	s_add_co_u32 s7, s12, s16
	s_add_co_ci_u32 s14, s13, s0
	s_add_co_ci_u32 s7, s17, 0
	s_delay_alu instid0(SALU_CYCLE_1) | instskip(NEXT) | instid1(SALU_CYCLE_1)
	s_add_nc_u64 s[6:7], s[14:15], s[6:7]
	s_add_co_u32 s0, s2, s6
	s_cselect_b32 s2, -1, 0
	s_delay_alu instid0(SALU_CYCLE_1)
	s_cmp_lg_u32 s2, 0
	s_add_co_ci_u32 s14, s3, s7
	s_mov_b64 s[2:3], 0xffffffff
	v_mul_u64_e32 v[4:5], s[14:15], v[2:3]
	v_mul_hi_u32 v2, v0, s0
	s_and_b64 s[2:3], s[0:1], s[2:3]
	s_delay_alu instid0(VALU_DEP_1) | instskip(SKIP_1) | instid1(VALU_DEP_1)
	v_add_nc_u64_e32 v[4:5], v[2:3], v[4:5]
	v_mov_b32_e32 v2, v1
	v_mul_u64_e32 v[6:7], s[2:3], v[2:3]
	v_mul_u64_e32 v[8:9], s[14:15], v[2:3]
	s_delay_alu instid0(VALU_DEP_2) | instskip(NEXT) | instid1(VALU_DEP_3)
	v_add_co_u32 v2, vcc_lo, v4, v6
	v_add_co_ci_u32_e32 v2, vcc_lo, v5, v7, vcc_lo
	s_delay_alu instid0(VALU_DEP_3) | instskip(NEXT) | instid1(VALU_DEP_1)
	v_add_co_ci_u32_e32 v9, vcc_lo, 0, v9, vcc_lo
	v_add_nc_u64_e32 v[2:3], v[2:3], v[8:9]
	s_delay_alu instid0(VALU_DEP_1) | instskip(NEXT) | instid1(VALU_DEP_1)
	v_mul_u64_e32 v[2:3], s[8:9], v[2:3]
	v_sub_nc_u32_e32 v4, v1, v3
	s_delay_alu instid0(VALU_DEP_2) | instskip(NEXT) | instid1(VALU_DEP_1)
	v_sub_co_u32 v2, vcc_lo, v0, v2
	v_sub_co_ci_u32_e64 v3, null, v1, v3, vcc_lo
	s_delay_alu instid0(VALU_DEP_3) | instskip(NEXT) | instid1(VALU_DEP_3)
	v_subrev_co_ci_u32_e64 v4, null, s9, v4, vcc_lo
	v_sub_co_u32 v5, vcc_lo, v2, s8
	v_cmp_le_u32_e64 s0, s8, v2
	s_delay_alu instid0(VALU_DEP_3) | instskip(SKIP_1) | instid1(VALU_DEP_3)
	v_subrev_co_ci_u32_e64 v6, null, 0, v4, vcc_lo
	v_subrev_co_ci_u32_e64 v4, null, s9, v4, vcc_lo
	v_cndmask_b32_e64 v7, 0, -1, s0
	v_cmp_le_u32_e64 s0, s8, v5
	v_cmp_le_u32_e32 vcc_lo, s9, v3
	s_delay_alu instid0(VALU_DEP_2) | instskip(SKIP_3) | instid1(VALU_DEP_3)
	v_cndmask_b32_e64 v8, 0, -1, s0
	v_cmp_le_u32_e64 s0, s9, v6
	v_cndmask_b32_e64 v10, 0, -1, vcc_lo
	v_cmp_eq_u32_e32 vcc_lo, s9, v6
	v_cndmask_b32_e64 v9, 0, -1, s0
	v_cmp_eq_u32_e64 s0, s9, v3
	s_delay_alu instid0(VALU_DEP_1) | instskip(SKIP_1) | instid1(VALU_DEP_1)
	v_dual_cndmask_b32 v8, v9, v8, vcc_lo :: v_dual_cndmask_b32 v7, v10, v7, s0
	v_sub_co_u32 v9, vcc_lo, v5, s8
	v_subrev_co_ci_u32_e64 v4, null, 0, v4, vcc_lo
	s_delay_alu instid0(VALU_DEP_3) | instskip(NEXT) | instid1(VALU_DEP_2)
	v_cmp_ne_u32_e32 vcc_lo, 0, v8
	v_dual_cndmask_b32 v4, v6, v4 :: v_dual_cndmask_b32 v5, v5, v9
	v_cmp_ne_u32_e32 vcc_lo, 0, v7
	s_delay_alu instid0(VALU_DEP_2)
	v_dual_cndmask_b32 v3, v3, v4 :: v_dual_cndmask_b32 v2, v2, v5
.LBB13_3:
	s_and_not1_saveexec_b32 s0, s1
	s_cbranch_execz .LBB13_5
; %bb.4:
	v_cvt_f32_u32_e32 v2, s8
	s_sub_co_i32 s1, 0, s8
	s_delay_alu instid0(VALU_DEP_1) | instskip(SKIP_1) | instid1(TRANS32_DEP_1)
	v_rcp_iflag_f32_e32 v2, v2
	v_nop
	v_mul_f32_e32 v2, 0x4f7ffffe, v2
	s_delay_alu instid0(VALU_DEP_1) | instskip(NEXT) | instid1(VALU_DEP_1)
	v_cvt_u32_f32_e32 v2, v2
	v_mul_lo_u32 v3, s1, v2
	s_delay_alu instid0(VALU_DEP_1) | instskip(NEXT) | instid1(VALU_DEP_1)
	v_mul_hi_u32 v3, v2, v3
	v_add_nc_u32_e32 v2, v2, v3
	s_delay_alu instid0(VALU_DEP_1) | instskip(NEXT) | instid1(VALU_DEP_1)
	v_mul_hi_u32 v2, v0, v2
	v_mul_lo_u32 v2, v2, s8
	s_delay_alu instid0(VALU_DEP_1) | instskip(NEXT) | instid1(VALU_DEP_1)
	v_sub_nc_u32_e32 v2, v0, v2
	v_subrev_nc_u32_e32 v3, s8, v2
	v_cmp_le_u32_e32 vcc_lo, s8, v2
	s_delay_alu instid0(VALU_DEP_2) | instskip(NEXT) | instid1(VALU_DEP_1)
	v_cndmask_b32_e32 v2, v2, v3, vcc_lo
	v_subrev_nc_u32_e32 v3, s8, v2
	v_cmp_le_u32_e32 vcc_lo, s8, v2
	s_delay_alu instid0(VALU_DEP_2)
	v_dual_cndmask_b32 v2, v2, v3 :: v_dual_mov_b32 v3, 0
.LBB13_5:
	s_or_b32 exec_lo, exec_lo, s0
	s_delay_alu instid0(VALU_DEP_1) | instskip(SKIP_1) | instid1(VALU_DEP_1)
	v_dual_mov_b32 v4, 0 :: v_dual_bitop2_b32 v5, s11, v3 bitop3:0x54
                                        ; implicit-def: $vgpr6_vgpr7
	s_mov_b32 s0, exec_lo
	v_cmpx_ne_u64_e32 0, v[4:5]
	s_xor_b32 s1, exec_lo, s0
	s_cbranch_execz .LBB13_7
; %bb.6:
	s_cvt_f32_u32 s0, s10
	s_cvt_f32_u32 s2, s11
	s_sub_nc_u64 s[6:7], 0, s[10:11]
	s_mov_b32 s13, 0
	v_dual_mov_b32 v6, v2 :: v_dual_mov_b32 v7, v4
	s_fmamk_f32 s0, s2, 0x4f800000, s0
	v_dual_mov_b32 v8, v3 :: v_dual_mov_b32 v9, v4
	v_dual_mov_b32 v13, v4 :: v_dual_mov_b32 v5, v4
	s_delay_alu instid0(SALU_CYCLE_1) | instskip(NEXT) | instid1(TRANS32_DEP_1)
	v_s_rcp_f32 s0, s0
	s_mul_f32 s0, s0, 0x5f7ffffc
	s_delay_alu instid0(SALU_CYCLE_3) | instskip(NEXT) | instid1(SALU_CYCLE_3)
	s_mul_f32 s2, s0, 0x2f800000
	s_trunc_f32 s2, s2
	s_delay_alu instid0(SALU_CYCLE_3) | instskip(SKIP_1) | instid1(SALU_CYCLE_2)
	s_fmamk_f32 s0, s2, 0xcf800000, s0
	s_cvt_u32_f32 s3, s2
	s_cvt_u32_f32 s2, s0
	s_delay_alu instid0(SALU_CYCLE_3) | instskip(NEXT) | instid1(SALU_CYCLE_1)
	s_mul_u64 s[8:9], s[6:7], s[2:3]
	s_mul_hi_u32 s15, s2, s9
	s_mul_i32 s14, s2, s9
	s_mul_hi_u32 s12, s2, s8
	s_mul_i32 s16, s3, s8
	s_add_nc_u64 s[14:15], s[12:13], s[14:15]
	s_mul_hi_u32 s0, s3, s8
	s_mul_hi_u32 s17, s3, s9
	s_mul_i32 s8, s3, s9
	s_add_co_u32 s9, s14, s16
	s_add_co_ci_u32 s12, s15, s0
	s_add_co_ci_u32 s9, s17, 0
	s_delay_alu instid0(SALU_CYCLE_1) | instskip(NEXT) | instid1(SALU_CYCLE_1)
	s_add_nc_u64 s[8:9], s[12:13], s[8:9]
	s_add_co_u32 s2, s2, s8
	s_cselect_b32 s0, -1, 0
	s_delay_alu instid0(SALU_CYCLE_1) | instskip(SKIP_1) | instid1(SALU_CYCLE_1)
	s_cmp_lg_u32 s0, 0
	s_add_co_ci_u32 s3, s3, s9
	s_mul_u64 s[6:7], s[6:7], s[2:3]
	s_delay_alu instid0(SALU_CYCLE_1)
	s_mul_hi_u32 s9, s2, s7
	s_mul_i32 s8, s2, s7
	s_mul_hi_u32 s12, s2, s6
	s_mul_i32 s14, s3, s6
	s_add_nc_u64 s[8:9], s[12:13], s[8:9]
	s_mul_hi_u32 s0, s3, s6
	s_mul_hi_u32 s15, s3, s7
	s_mul_i32 s6, s3, s7
	s_add_co_u32 s7, s8, s14
	s_add_co_ci_u32 s12, s9, s0
	s_add_co_ci_u32 s7, s15, 0
	s_delay_alu instid0(SALU_CYCLE_1) | instskip(NEXT) | instid1(SALU_CYCLE_1)
	s_add_nc_u64 s[6:7], s[12:13], s[6:7]
	s_add_co_u32 s0, s2, s6
	s_cselect_b32 s2, -1, 0
	v_nop
	v_mul_hi_u32 v12, v2, s0
	s_cmp_lg_u32 s2, 0
	s_add_co_ci_u32 s12, s3, s7
	s_mov_b64 s[2:3], 0xffffffff
	v_mul_u64_e32 v[6:7], s[12:13], v[6:7]
	s_and_b64 s[2:3], s[0:1], s[2:3]
	s_delay_alu instid0(SALU_CYCLE_1) | instskip(SKIP_1) | instid1(VALU_DEP_3)
	v_mul_u64_e32 v[10:11], s[2:3], v[8:9]
	v_mul_u64_e32 v[8:9], s[12:13], v[8:9]
	v_add_nc_u64_e32 v[6:7], v[12:13], v[6:7]
	s_delay_alu instid0(VALU_DEP_1) | instskip(NEXT) | instid1(VALU_DEP_2)
	v_add_co_u32 v4, vcc_lo, v6, v10
	v_add_co_ci_u32_e32 v4, vcc_lo, v7, v11, vcc_lo
	s_delay_alu instid0(VALU_DEP_4) | instskip(NEXT) | instid1(VALU_DEP_1)
	v_add_co_ci_u32_e32 v9, vcc_lo, 0, v9, vcc_lo
	v_add_nc_u64_e32 v[4:5], v[4:5], v[8:9]
	s_delay_alu instid0(VALU_DEP_1) | instskip(SKIP_1) | instid1(VALU_DEP_2)
	v_mul_u64_e32 v[6:7], s[10:11], v[4:5]
	v_add_nc_u64_e32 v[8:9], 2, v[4:5]
	v_sub_nc_u32_e32 v10, v3, v7
	s_delay_alu instid0(VALU_DEP_3) | instskip(NEXT) | instid1(VALU_DEP_1)
	v_sub_co_u32 v6, vcc_lo, v2, v6
	v_sub_co_ci_u32_e64 v3, null, v3, v7, vcc_lo
	s_delay_alu instid0(VALU_DEP_3) | instskip(SKIP_1) | instid1(VALU_DEP_4)
	v_subrev_co_ci_u32_e64 v9, null, s11, v10, vcc_lo
	v_add_nc_u64_e32 v[10:11], 1, v[4:5]
	v_sub_co_u32 v5, s0, v6, s10
	s_delay_alu instid0(VALU_DEP_1) | instskip(NEXT) | instid1(VALU_DEP_2)
	v_subrev_co_ci_u32_e64 v9, null, 0, v9, s0
	v_cmp_le_u32_e32 vcc_lo, s10, v5
	v_cndmask_b32_e64 v5, 0, -1, vcc_lo
	s_delay_alu instid0(VALU_DEP_3)
	v_cmp_le_u32_e32 vcc_lo, s11, v9
	v_cndmask_b32_e64 v7, 0, -1, vcc_lo
	v_cmp_le_u32_e32 vcc_lo, s10, v6
	v_cndmask_b32_e64 v6, 0, -1, vcc_lo
	;; [unrolled: 2-line block ×3, first 2 shown]
	v_cmp_eq_u32_e32 vcc_lo, s11, v9
	v_cndmask_b32_e32 v5, v7, v5, vcc_lo
	v_cmp_eq_u32_e32 vcc_lo, s11, v3
	s_delay_alu instid0(VALU_DEP_4) | instskip(NEXT) | instid1(VALU_DEP_3)
	v_cndmask_b32_e32 v3, v11, v6, vcc_lo
	v_cmp_ne_u32_e32 vcc_lo, 0, v5
	v_cndmask_b32_e32 v5, v10, v8, vcc_lo
	s_delay_alu instid0(VALU_DEP_3) | instskip(NEXT) | instid1(VALU_DEP_2)
	v_cmp_ne_u32_e32 vcc_lo, 0, v3
	v_cndmask_b32_e32 v6, v4, v5, vcc_lo
.LBB13_7:
	s_and_not1_saveexec_b32 s0, s1
	s_cbranch_execz .LBB13_9
; %bb.8:
	v_cvt_f32_u32_e32 v3, s10
	s_sub_co_i32 s1, 0, s10
	s_delay_alu instid0(VALU_DEP_1) | instskip(SKIP_1) | instid1(TRANS32_DEP_1)
	v_rcp_iflag_f32_e32 v3, v3
	v_nop
	v_mul_f32_e32 v3, 0x4f7ffffe, v3
	s_delay_alu instid0(VALU_DEP_1) | instskip(NEXT) | instid1(VALU_DEP_1)
	v_cvt_u32_f32_e32 v3, v3
	v_mul_lo_u32 v4, s1, v3
	s_delay_alu instid0(VALU_DEP_1) | instskip(NEXT) | instid1(VALU_DEP_1)
	v_mul_hi_u32 v4, v3, v4
	v_add_nc_u32_e32 v3, v3, v4
	s_delay_alu instid0(VALU_DEP_1) | instskip(NEXT) | instid1(VALU_DEP_1)
	v_mul_hi_u32 v3, v2, v3
	v_mul_lo_u32 v4, v3, s10
	s_delay_alu instid0(VALU_DEP_1) | instskip(NEXT) | instid1(VALU_DEP_1)
	v_dual_add_nc_u32 v5, 1, v3 :: v_dual_sub_nc_u32 v4, v2, v4
	v_subrev_nc_u32_e32 v6, s10, v4
	v_cmp_le_u32_e32 vcc_lo, s10, v4
	s_delay_alu instid0(VALU_DEP_2) | instskip(NEXT) | instid1(VALU_DEP_1)
	v_dual_cndmask_b32 v4, v4, v6 :: v_dual_cndmask_b32 v3, v3, v5
	v_cmp_le_u32_e32 vcc_lo, s10, v4
	s_delay_alu instid0(VALU_DEP_2) | instskip(NEXT) | instid1(VALU_DEP_1)
	v_add_nc_u32_e32 v5, 1, v3
	v_cndmask_b32_e32 v6, v3, v5, vcc_lo
.LBB13_9:
	s_or_b32 exec_lo, exec_lo, s0
	s_mov_b32 s0, 0x19660d
	s_delay_alu instid0(SALU_CYCLE_1) | instskip(NEXT) | instid1(VALU_DEP_1)
	v_mad_nc_u64_u32 v[4:5], v0, s0, 0x3c6ef35f
	v_mad_u32 v5, 0x19660d, v1, v5
	v_lshl_add_u64 v[0:1], v[0:1], 3, s[4:5]
	s_delay_alu instid0(VALU_DEP_2) | instskip(NEXT) | instid1(VALU_DEP_1)
	v_lshlrev_b64_e32 v[8:9], 13, v[4:5]
	v_xor_b32_e32 v5, v9, v5
	s_delay_alu instid0(VALU_DEP_2) | instskip(NEXT) | instid1(VALU_DEP_1)
	v_xor_b32_e32 v4, v8, v4
	v_lshrrev_b64 v[8:9], 17, v[4:5]
	s_delay_alu instid0(VALU_DEP_1) | instskip(NEXT) | instid1(VALU_DEP_2)
	v_xor_b32_e32 v5, v9, v5
	v_xor_b32_e32 v4, v8, v4
	s_delay_alu instid0(VALU_DEP_1) | instskip(NEXT) | instid1(VALU_DEP_1)
	v_lshlrev_b64_e32 v[8:9], 5, v[4:5]
	v_xor_b32_e32 v5, v9, v5
	s_delay_alu instid0(VALU_DEP_2) | instskip(NEXT) | instid1(VALU_DEP_1)
	v_xor_b32_e32 v4, v8, v4
	v_lshlrev_b64_e32 v[8:9], 13, v[4:5]
	s_delay_alu instid0(VALU_DEP_1) | instskip(NEXT) | instid1(VALU_DEP_2)
	v_xor_b32_e32 v5, v9, v5
	v_xor_b32_e32 v4, v8, v4
	s_delay_alu instid0(VALU_DEP_1) | instskip(NEXT) | instid1(VALU_DEP_1)
	v_lshrrev_b64 v[8:9], 17, v[4:5]
	v_xor_b32_e32 v5, v9, v5
	s_delay_alu instid0(VALU_DEP_2) | instskip(NEXT) | instid1(VALU_DEP_1)
	v_xor_b32_e32 v4, v8, v4
	v_lshlrev_b64_e32 v[8:9], 5, v[4:5]
	s_delay_alu instid0(VALU_DEP_1) | instskip(NEXT) | instid1(VALU_DEP_2)
	v_xor_b32_e32 v5, v9, v5
	v_xor_b32_e32 v4, v8, v4
	s_delay_alu instid0(VALU_DEP_1) | instskip(NEXT) | instid1(VALU_DEP_1)
	v_lshlrev_b64_e32 v[8:9], 13, v[4:5]
	v_xor_b32_e32 v3, v9, v5
	s_delay_alu instid0(VALU_DEP_2) | instskip(NEXT) | instid1(VALU_DEP_1)
	v_xor_b32_e32 v4, v8, v4
	v_alignbit_b32 v3, v3, v4, 17
	s_delay_alu instid0(VALU_DEP_1) | instskip(NEXT) | instid1(VALU_DEP_1)
	v_xor_b32_e32 v3, v3, v4
	v_lshlrev_b32_e32 v4, 5, v3
	s_delay_alu instid0(VALU_DEP_1) | instskip(NEXT) | instid1(VALU_DEP_1)
	v_xor_b32_e32 v3, v4, v3
	v_mul_hi_u32 v4, 0xcccccccd, v3
	s_delay_alu instid0(VALU_DEP_1) | instskip(NEXT) | instid1(VALU_DEP_1)
	v_lshrrev_b32_e32 v4, 3, v4
	v_mul_lo_u32 v4, v4, 10
	s_delay_alu instid0(VALU_DEP_1) | instskip(NEXT) | instid1(VALU_DEP_1)
	v_sub_nc_u32_e32 v3, v3, v4
	v_add_nc_u32_e32 v3, 1, v3
	s_delay_alu instid0(VALU_DEP_1) | instskip(SKIP_1) | instid1(VALU_DEP_1)
	v_cvt_f64_u32_e32 v[4:5], v3
	v_mul_lo_u32 v3, v6, s10
	v_sub_nc_u32_e32 v2, v2, v3
	s_delay_alu instid0(VALU_DEP_1) | instskip(NEXT) | instid1(VALU_DEP_1)
	v_bitop3_b32 v2, v2, 1, v6 bitop3:0x48
	v_cmp_eq_u32_e32 vcc_lo, 0, v2
	v_xor_b32_e32 v3, 0x80000000, v5
	s_delay_alu instid0(VALU_DEP_1)
	v_cndmask_b32_e32 v5, v5, v3, vcc_lo
	global_store_b64 v[0:1], v[4:5], off
.LBB13_10:
	s_endpgm
	.section	.rodata,"a",@progbits
	.p2align	6, 0x0
	.amdhsa_kernel _Z11fill_kernelIdZ21hipblaslt_init_deviceIdEv8ABC_dims24hipblaslt_initializationbPT_mmmmmEUlmE1_EvS4_mmT0_
		.amdhsa_group_segment_fixed_size 0
		.amdhsa_private_segment_fixed_size 0
		.amdhsa_kernarg_size 296
		.amdhsa_user_sgpr_count 2
		.amdhsa_user_sgpr_dispatch_ptr 0
		.amdhsa_user_sgpr_queue_ptr 0
		.amdhsa_user_sgpr_kernarg_segment_ptr 1
		.amdhsa_user_sgpr_dispatch_id 0
		.amdhsa_user_sgpr_kernarg_preload_length 0
		.amdhsa_user_sgpr_kernarg_preload_offset 0
		.amdhsa_user_sgpr_private_segment_size 0
		.amdhsa_wavefront_size32 1
		.amdhsa_uses_dynamic_stack 0
		.amdhsa_enable_private_segment 0
		.amdhsa_system_sgpr_workgroup_id_x 1
		.amdhsa_system_sgpr_workgroup_id_y 0
		.amdhsa_system_sgpr_workgroup_id_z 0
		.amdhsa_system_sgpr_workgroup_info 0
		.amdhsa_system_vgpr_workitem_id 0
		.amdhsa_next_free_vgpr 14
		.amdhsa_next_free_sgpr 20
		.amdhsa_named_barrier_count 0
		.amdhsa_reserve_vcc 1
		.amdhsa_float_round_mode_32 0
		.amdhsa_float_round_mode_16_64 0
		.amdhsa_float_denorm_mode_32 3
		.amdhsa_float_denorm_mode_16_64 3
		.amdhsa_fp16_overflow 0
		.amdhsa_memory_ordered 1
		.amdhsa_forward_progress 1
		.amdhsa_inst_pref_size 15
		.amdhsa_round_robin_scheduling 0
		.amdhsa_exception_fp_ieee_invalid_op 0
		.amdhsa_exception_fp_denorm_src 0
		.amdhsa_exception_fp_ieee_div_zero 0
		.amdhsa_exception_fp_ieee_overflow 0
		.amdhsa_exception_fp_ieee_underflow 0
		.amdhsa_exception_fp_ieee_inexact 0
		.amdhsa_exception_int_div_zero 0
	.end_amdhsa_kernel
	.section	.text._Z11fill_kernelIdZ21hipblaslt_init_deviceIdEv8ABC_dims24hipblaslt_initializationbPT_mmmmmEUlmE1_EvS4_mmT0_,"axG",@progbits,_Z11fill_kernelIdZ21hipblaslt_init_deviceIdEv8ABC_dims24hipblaslt_initializationbPT_mmmmmEUlmE1_EvS4_mmT0_,comdat
.Lfunc_end13:
	.size	_Z11fill_kernelIdZ21hipblaslt_init_deviceIdEv8ABC_dims24hipblaslt_initializationbPT_mmmmmEUlmE1_EvS4_mmT0_, .Lfunc_end13-_Z11fill_kernelIdZ21hipblaslt_init_deviceIdEv8ABC_dims24hipblaslt_initializationbPT_mmmmmEUlmE1_EvS4_mmT0_
                                        ; -- End function
	.set _Z11fill_kernelIdZ21hipblaslt_init_deviceIdEv8ABC_dims24hipblaslt_initializationbPT_mmmmmEUlmE1_EvS4_mmT0_.num_vgpr, 14
	.set _Z11fill_kernelIdZ21hipblaslt_init_deviceIdEv8ABC_dims24hipblaslt_initializationbPT_mmmmmEUlmE1_EvS4_mmT0_.num_agpr, 0
	.set _Z11fill_kernelIdZ21hipblaslt_init_deviceIdEv8ABC_dims24hipblaslt_initializationbPT_mmmmmEUlmE1_EvS4_mmT0_.numbered_sgpr, 20
	.set _Z11fill_kernelIdZ21hipblaslt_init_deviceIdEv8ABC_dims24hipblaslt_initializationbPT_mmmmmEUlmE1_EvS4_mmT0_.num_named_barrier, 0
	.set _Z11fill_kernelIdZ21hipblaslt_init_deviceIdEv8ABC_dims24hipblaslt_initializationbPT_mmmmmEUlmE1_EvS4_mmT0_.private_seg_size, 0
	.set _Z11fill_kernelIdZ21hipblaslt_init_deviceIdEv8ABC_dims24hipblaslt_initializationbPT_mmmmmEUlmE1_EvS4_mmT0_.uses_vcc, 1
	.set _Z11fill_kernelIdZ21hipblaslt_init_deviceIdEv8ABC_dims24hipblaslt_initializationbPT_mmmmmEUlmE1_EvS4_mmT0_.uses_flat_scratch, 0
	.set _Z11fill_kernelIdZ21hipblaslt_init_deviceIdEv8ABC_dims24hipblaslt_initializationbPT_mmmmmEUlmE1_EvS4_mmT0_.has_dyn_sized_stack, 0
	.set _Z11fill_kernelIdZ21hipblaslt_init_deviceIdEv8ABC_dims24hipblaslt_initializationbPT_mmmmmEUlmE1_EvS4_mmT0_.has_recursion, 0
	.set _Z11fill_kernelIdZ21hipblaslt_init_deviceIdEv8ABC_dims24hipblaslt_initializationbPT_mmmmmEUlmE1_EvS4_mmT0_.has_indirect_call, 0
	.section	.AMDGPU.csdata,"",@progbits
; Kernel info:
; codeLenInByte = 1820
; TotalNumSgprs: 22
; NumVgprs: 14
; ScratchSize: 0
; MemoryBound: 0
; FloatMode: 240
; IeeeMode: 1
; LDSByteSize: 0 bytes/workgroup (compile time only)
; SGPRBlocks: 0
; VGPRBlocks: 0
; NumSGPRsForWavesPerEU: 22
; NumVGPRsForWavesPerEU: 14
; NamedBarCnt: 0
; Occupancy: 16
; WaveLimiterHint : 0
; COMPUTE_PGM_RSRC2:SCRATCH_EN: 0
; COMPUTE_PGM_RSRC2:USER_SGPR: 2
; COMPUTE_PGM_RSRC2:TRAP_HANDLER: 0
; COMPUTE_PGM_RSRC2:TGID_X_EN: 1
; COMPUTE_PGM_RSRC2:TGID_Y_EN: 0
; COMPUTE_PGM_RSRC2:TGID_Z_EN: 0
; COMPUTE_PGM_RSRC2:TIDIG_COMP_CNT: 0
	.section	.text._Z11fill_kernelIdZ21hipblaslt_init_deviceIdEv8ABC_dims24hipblaslt_initializationbPT_mmmmmEUlmE2_EvS4_mmT0_,"axG",@progbits,_Z11fill_kernelIdZ21hipblaslt_init_deviceIdEv8ABC_dims24hipblaslt_initializationbPT_mmmmmEUlmE2_EvS4_mmT0_,comdat
	.protected	_Z11fill_kernelIdZ21hipblaslt_init_deviceIdEv8ABC_dims24hipblaslt_initializationbPT_mmmmmEUlmE2_EvS4_mmT0_ ; -- Begin function _Z11fill_kernelIdZ21hipblaslt_init_deviceIdEv8ABC_dims24hipblaslt_initializationbPT_mmmmmEUlmE2_EvS4_mmT0_
	.globl	_Z11fill_kernelIdZ21hipblaslt_init_deviceIdEv8ABC_dims24hipblaslt_initializationbPT_mmmmmEUlmE2_EvS4_mmT0_
	.p2align	8
	.type	_Z11fill_kernelIdZ21hipblaslt_init_deviceIdEv8ABC_dims24hipblaslt_initializationbPT_mmmmmEUlmE2_EvS4_mmT0_,@function
_Z11fill_kernelIdZ21hipblaslt_init_deviceIdEv8ABC_dims24hipblaslt_initializationbPT_mmmmmEUlmE2_EvS4_mmT0_: ; @_Z11fill_kernelIdZ21hipblaslt_init_deviceIdEv8ABC_dims24hipblaslt_initializationbPT_mmmmmEUlmE2_EvS4_mmT0_
; %bb.0:
	s_clause 0x1
	s_load_b32 s2, s[0:1], 0x44
	s_load_b128 s[12:15], s[0:1], 0x0
	s_bfe_u32 s3, ttmp6, 0x4000c
	s_and_b32 s4, ttmp6, 15
	s_add_co_i32 s3, s3, 1
	s_getreg_b32 s5, hwreg(HW_REG_IB_STS2, 6, 4)
	s_mul_i32 s3, ttmp9, s3
	v_mov_b32_e32 v3, 0
	s_add_co_i32 s4, s4, s3
	s_wait_kmcnt 0x0
	s_and_b32 s2, s2, 0xffff
	s_cmp_eq_u32 s5, 0
	s_cselect_b32 s3, ttmp9, s4
	s_delay_alu instid0(SALU_CYCLE_1) | instskip(SKIP_1) | instid1(VALU_DEP_1)
	v_mad_u32 v2, s3, s2, v0
	s_mov_b32 s2, exec_lo
	v_cmpx_gt_u64_e64 s[14:15], v[2:3]
	s_cbranch_execz .LBB14_14
; %bb.1:
	s_clause 0x1
	s_load_b64 s[2:3], s[0:1], 0x10
	s_load_b256 s[4:11], s[0:1], 0x18
	s_wait_xcnt 0x0
	s_mov_b32 s0, exec_lo
	v_mov_b32_e32 v4, v3
	s_wait_kmcnt 0x0
	v_add_nc_u64_e32 v[0:1], s[2:3], v[2:3]
                                        ; implicit-def: $vgpr2_vgpr3
	s_delay_alu instid0(VALU_DEP_1) | instskip(NEXT) | instid1(VALU_DEP_1)
	v_or_b32_e32 v5, s9, v1
	v_cmpx_ne_u64_e32 0, v[4:5]
	s_xor_b32 s1, exec_lo, s0
	s_cbranch_execz .LBB14_3
; %bb.2:
	s_cvt_f32_u32 s0, s8
	s_cvt_f32_u32 s2, s9
	s_sub_nc_u64 s[14:15], 0, s[8:9]
	s_mov_b32 s19, 0
	v_dual_mov_b32 v3, 0 :: v_dual_mov_b32 v2, v0
	s_fmamk_f32 s0, s2, 0x4f800000, s0
	s_delay_alu instid0(SALU_CYCLE_3) | instskip(NEXT) | instid1(TRANS32_DEP_1)
	v_s_rcp_f32 s0, s0
	s_mul_f32 s0, s0, 0x5f7ffffc
	s_delay_alu instid0(SALU_CYCLE_3) | instskip(NEXT) | instid1(SALU_CYCLE_3)
	s_mul_f32 s2, s0, 0x2f800000
	s_trunc_f32 s2, s2
	s_delay_alu instid0(SALU_CYCLE_3) | instskip(SKIP_1) | instid1(SALU_CYCLE_2)
	s_fmamk_f32 s0, s2, 0xcf800000, s0
	s_cvt_u32_f32 s3, s2
	s_cvt_u32_f32 s2, s0
	s_delay_alu instid0(SALU_CYCLE_3) | instskip(NEXT) | instid1(SALU_CYCLE_1)
	s_mul_u64 s[16:17], s[14:15], s[2:3]
	s_mul_hi_u32 s21, s2, s17
	s_mul_i32 s20, s2, s17
	s_mul_hi_u32 s18, s2, s16
	s_mul_i32 s22, s3, s16
	s_add_nc_u64 s[20:21], s[18:19], s[20:21]
	s_mul_hi_u32 s0, s3, s16
	s_mul_hi_u32 s23, s3, s17
	s_mul_i32 s16, s3, s17
	s_add_co_u32 s17, s20, s22
	s_add_co_ci_u32 s18, s21, s0
	s_add_co_ci_u32 s17, s23, 0
	s_delay_alu instid0(SALU_CYCLE_1) | instskip(NEXT) | instid1(SALU_CYCLE_1)
	s_add_nc_u64 s[16:17], s[18:19], s[16:17]
	s_add_co_u32 s2, s2, s16
	s_cselect_b32 s0, -1, 0
	s_delay_alu instid0(SALU_CYCLE_1) | instskip(SKIP_1) | instid1(SALU_CYCLE_1)
	s_cmp_lg_u32 s0, 0
	s_add_co_ci_u32 s3, s3, s17
	s_mul_u64 s[14:15], s[14:15], s[2:3]
	s_delay_alu instid0(SALU_CYCLE_1)
	s_mul_hi_u32 s17, s2, s15
	s_mul_i32 s16, s2, s15
	s_mul_hi_u32 s18, s2, s14
	s_mul_i32 s20, s3, s14
	s_add_nc_u64 s[16:17], s[18:19], s[16:17]
	s_mul_hi_u32 s0, s3, s14
	s_mul_hi_u32 s21, s3, s15
	s_mul_i32 s14, s3, s15
	s_add_co_u32 s15, s16, s20
	s_add_co_ci_u32 s18, s17, s0
	s_add_co_ci_u32 s15, s21, 0
	s_delay_alu instid0(SALU_CYCLE_1) | instskip(NEXT) | instid1(SALU_CYCLE_1)
	s_add_nc_u64 s[14:15], s[18:19], s[14:15]
	s_add_co_u32 s0, s2, s14
	s_cselect_b32 s2, -1, 0
	s_delay_alu instid0(SALU_CYCLE_1)
	s_cmp_lg_u32 s2, 0
	s_add_co_ci_u32 s18, s3, s15
	s_mov_b64 s[2:3], 0xffffffff
	v_mul_u64_e32 v[4:5], s[18:19], v[2:3]
	v_mul_hi_u32 v2, v0, s0
	s_and_b64 s[2:3], s[0:1], s[2:3]
	s_delay_alu instid0(VALU_DEP_1) | instskip(SKIP_1) | instid1(VALU_DEP_1)
	v_add_nc_u64_e32 v[4:5], v[2:3], v[4:5]
	v_mov_b32_e32 v2, v1
	v_mul_u64_e32 v[6:7], s[2:3], v[2:3]
	v_mul_u64_e32 v[8:9], s[18:19], v[2:3]
	s_delay_alu instid0(VALU_DEP_2) | instskip(NEXT) | instid1(VALU_DEP_3)
	v_add_co_u32 v2, vcc_lo, v4, v6
	v_add_co_ci_u32_e32 v2, vcc_lo, v5, v7, vcc_lo
	s_delay_alu instid0(VALU_DEP_3) | instskip(NEXT) | instid1(VALU_DEP_1)
	v_add_co_ci_u32_e32 v9, vcc_lo, 0, v9, vcc_lo
	v_add_nc_u64_e32 v[2:3], v[2:3], v[8:9]
	s_delay_alu instid0(VALU_DEP_1) | instskip(NEXT) | instid1(VALU_DEP_1)
	v_mul_u64_e32 v[4:5], s[8:9], v[2:3]
	v_sub_nc_u32_e32 v6, v1, v5
	s_delay_alu instid0(VALU_DEP_2) | instskip(NEXT) | instid1(VALU_DEP_1)
	v_sub_co_u32 v4, vcc_lo, v0, v4
	v_sub_co_ci_u32_e64 v11, null, v1, v5, vcc_lo
	s_delay_alu instid0(VALU_DEP_3) | instskip(NEXT) | instid1(VALU_DEP_3)
	v_subrev_co_ci_u32_e64 v6, null, s9, v6, vcc_lo
	v_sub_co_u32 v8, s0, v4, s8
	v_cmp_le_u32_e32 vcc_lo, s8, v4
	s_delay_alu instid0(VALU_DEP_3) | instskip(NEXT) | instid1(VALU_DEP_3)
	v_subrev_co_ci_u32_e64 v9, null, 0, v6, s0
	v_cmp_le_u32_e64 s0, s8, v8
	v_add_nc_u64_e32 v[6:7], 2, v[2:3]
	v_cndmask_b32_e64 v12, 0, -1, vcc_lo
	s_delay_alu instid0(VALU_DEP_4) | instskip(SKIP_3) | instid1(VALU_DEP_1)
	v_cmp_eq_u32_e32 vcc_lo, s9, v9
	v_add_nc_u64_e32 v[4:5], 1, v[2:3]
	v_cndmask_b32_e64 v8, 0, -1, s0
	v_cmp_le_u32_e64 s0, s9, v9
	v_cndmask_b32_e64 v10, 0, -1, s0
	v_cmp_eq_u32_e64 s0, s9, v11
	s_delay_alu instid0(VALU_DEP_2) | instskip(SKIP_2) | instid1(VALU_DEP_3)
	v_cndmask_b32_e32 v8, v10, v8, vcc_lo
	v_cmp_le_u32_e32 vcc_lo, s9, v11
	v_cndmask_b32_e64 v9, 0, -1, vcc_lo
	v_cmp_ne_u32_e32 vcc_lo, 0, v8
	s_delay_alu instid0(VALU_DEP_2) | instskip(SKIP_1) | instid1(VALU_DEP_2)
	v_dual_cndmask_b32 v8, v9, v12, s0 :: v_dual_cndmask_b32 v4, v4, v6, vcc_lo
	v_cndmask_b32_e32 v5, v5, v7, vcc_lo
	v_cmp_ne_u32_e32 vcc_lo, 0, v8
	s_delay_alu instid0(VALU_DEP_2)
	v_dual_cndmask_b32 v3, v3, v5 :: v_dual_cndmask_b32 v2, v2, v4
.LBB14_3:
	s_and_not1_saveexec_b32 s0, s1
	s_cbranch_execz .LBB14_5
; %bb.4:
	v_cvt_f32_u32_e32 v2, s8
	s_sub_co_i32 s1, 0, s8
	s_delay_alu instid0(VALU_DEP_1) | instskip(SKIP_1) | instid1(TRANS32_DEP_1)
	v_rcp_iflag_f32_e32 v2, v2
	v_nop
	v_mul_f32_e32 v2, 0x4f7ffffe, v2
	s_delay_alu instid0(VALU_DEP_1) | instskip(NEXT) | instid1(VALU_DEP_1)
	v_cvt_u32_f32_e32 v2, v2
	v_mul_lo_u32 v3, s1, v2
	s_delay_alu instid0(VALU_DEP_1) | instskip(NEXT) | instid1(VALU_DEP_1)
	v_mul_hi_u32 v3, v2, v3
	v_add_nc_u32_e32 v2, v2, v3
	s_delay_alu instid0(VALU_DEP_1) | instskip(NEXT) | instid1(VALU_DEP_1)
	v_mul_hi_u32 v2, v0, v2
	v_mul_lo_u32 v3, v2, s8
	s_delay_alu instid0(VALU_DEP_1) | instskip(NEXT) | instid1(VALU_DEP_1)
	v_dual_add_nc_u32 v4, 1, v2 :: v_dual_sub_nc_u32 v3, v0, v3
	v_subrev_nc_u32_e32 v5, s8, v3
	v_cmp_le_u32_e32 vcc_lo, s8, v3
	s_delay_alu instid0(VALU_DEP_2) | instskip(NEXT) | instid1(VALU_DEP_1)
	v_dual_cndmask_b32 v3, v3, v5 :: v_dual_cndmask_b32 v2, v2, v4
	v_cmp_le_u32_e32 vcc_lo, s8, v3
	s_delay_alu instid0(VALU_DEP_2) | instskip(NEXT) | instid1(VALU_DEP_1)
	v_dual_mov_b32 v3, 0 :: v_dual_add_nc_u32 v4, 1, v2
	v_cndmask_b32_e32 v2, v2, v4, vcc_lo
.LBB14_5:
	s_or_b32 exec_lo, exec_lo, s0
	s_delay_alu instid0(VALU_DEP_1) | instskip(SKIP_2) | instid1(VALU_DEP_2)
	v_mul_u64_e32 v[4:5], s[8:9], v[2:3]
                                        ; implicit-def: $vgpr8_vgpr9
	s_mov_b32 s0, exec_lo
	v_mov_b32_e32 v6, 0
	v_sub_nc_u64_e32 v[4:5], v[0:1], v[4:5]
	s_delay_alu instid0(VALU_DEP_1) | instskip(NEXT) | instid1(VALU_DEP_1)
	v_or_b32_e32 v7, s11, v5
	v_cmpx_ne_u64_e32 0, v[6:7]
	s_xor_b32 s1, exec_lo, s0
	s_cbranch_execz .LBB14_7
; %bb.6:
	s_cvt_f32_u32 s0, s10
	s_cvt_f32_u32 s2, s11
	s_sub_nc_u64 s[8:9], 0, s[10:11]
	s_mov_b32 s17, 0
	v_dual_mov_b32 v8, v4 :: v_dual_mov_b32 v9, v6
	s_fmamk_f32 s0, s2, 0x4f800000, s0
	v_dual_mov_b32 v10, v5 :: v_dual_mov_b32 v11, v6
	v_dual_mov_b32 v15, v6 :: v_dual_mov_b32 v7, v6
	s_delay_alu instid0(SALU_CYCLE_1) | instskip(NEXT) | instid1(TRANS32_DEP_1)
	v_s_rcp_f32 s0, s0
	s_mul_f32 s0, s0, 0x5f7ffffc
	s_delay_alu instid0(SALU_CYCLE_3) | instskip(NEXT) | instid1(SALU_CYCLE_3)
	s_mul_f32 s2, s0, 0x2f800000
	s_trunc_f32 s2, s2
	s_delay_alu instid0(SALU_CYCLE_3) | instskip(SKIP_1) | instid1(SALU_CYCLE_2)
	s_fmamk_f32 s0, s2, 0xcf800000, s0
	s_cvt_u32_f32 s3, s2
	s_cvt_u32_f32 s2, s0
	s_delay_alu instid0(SALU_CYCLE_3) | instskip(NEXT) | instid1(SALU_CYCLE_1)
	s_mul_u64 s[14:15], s[8:9], s[2:3]
	s_mul_hi_u32 s19, s2, s15
	s_mul_i32 s18, s2, s15
	s_mul_hi_u32 s16, s2, s14
	s_mul_i32 s20, s3, s14
	s_add_nc_u64 s[18:19], s[16:17], s[18:19]
	s_mul_hi_u32 s0, s3, s14
	s_mul_hi_u32 s21, s3, s15
	s_mul_i32 s14, s3, s15
	s_add_co_u32 s15, s18, s20
	s_add_co_ci_u32 s16, s19, s0
	s_add_co_ci_u32 s15, s21, 0
	s_delay_alu instid0(SALU_CYCLE_1) | instskip(NEXT) | instid1(SALU_CYCLE_1)
	s_add_nc_u64 s[14:15], s[16:17], s[14:15]
	s_add_co_u32 s2, s2, s14
	s_cselect_b32 s0, -1, 0
	s_delay_alu instid0(SALU_CYCLE_1) | instskip(SKIP_1) | instid1(SALU_CYCLE_1)
	s_cmp_lg_u32 s0, 0
	s_add_co_ci_u32 s3, s3, s15
	s_mul_u64 s[8:9], s[8:9], s[2:3]
	s_delay_alu instid0(SALU_CYCLE_1)
	s_mul_hi_u32 s15, s2, s9
	s_mul_i32 s14, s2, s9
	s_mul_hi_u32 s16, s2, s8
	s_mul_i32 s18, s3, s8
	s_add_nc_u64 s[14:15], s[16:17], s[14:15]
	s_mul_hi_u32 s0, s3, s8
	s_mul_hi_u32 s19, s3, s9
	s_mul_i32 s8, s3, s9
	s_add_co_u32 s9, s14, s18
	s_add_co_ci_u32 s16, s15, s0
	s_add_co_ci_u32 s9, s19, 0
	s_delay_alu instid0(SALU_CYCLE_1) | instskip(NEXT) | instid1(SALU_CYCLE_1)
	s_add_nc_u64 s[8:9], s[16:17], s[8:9]
	s_add_co_u32 s0, s2, s8
	s_cselect_b32 s2, -1, 0
	v_nop
	v_mul_hi_u32 v14, v4, s0
	s_cmp_lg_u32 s2, 0
	s_add_co_ci_u32 s16, s3, s9
	s_mov_b64 s[2:3], 0xffffffff
	v_mul_u64_e32 v[8:9], s[16:17], v[8:9]
	s_and_b64 s[2:3], s[0:1], s[2:3]
	s_delay_alu instid0(SALU_CYCLE_1) | instskip(SKIP_1) | instid1(VALU_DEP_3)
	v_mul_u64_e32 v[12:13], s[2:3], v[10:11]
	v_mul_u64_e32 v[10:11], s[16:17], v[10:11]
	v_add_nc_u64_e32 v[8:9], v[14:15], v[8:9]
	s_delay_alu instid0(VALU_DEP_1) | instskip(NEXT) | instid1(VALU_DEP_2)
	v_add_co_u32 v6, vcc_lo, v8, v12
	v_add_co_ci_u32_e32 v6, vcc_lo, v9, v13, vcc_lo
	s_delay_alu instid0(VALU_DEP_4) | instskip(NEXT) | instid1(VALU_DEP_1)
	v_add_co_ci_u32_e32 v11, vcc_lo, 0, v11, vcc_lo
	v_add_nc_u64_e32 v[6:7], v[6:7], v[10:11]
	s_delay_alu instid0(VALU_DEP_1) | instskip(NEXT) | instid1(VALU_DEP_1)
	v_mul_u64_e32 v[8:9], s[10:11], v[6:7]
	v_sub_nc_u32_e32 v10, v5, v9
	s_delay_alu instid0(VALU_DEP_2) | instskip(NEXT) | instid1(VALU_DEP_1)
	v_sub_co_u32 v8, vcc_lo, v4, v8
	v_sub_co_ci_u32_e64 v15, null, v5, v9, vcc_lo
	s_delay_alu instid0(VALU_DEP_3) | instskip(NEXT) | instid1(VALU_DEP_3)
	v_subrev_co_ci_u32_e64 v10, null, s11, v10, vcc_lo
	v_sub_co_u32 v12, s0, v8, s10
	v_cmp_le_u32_e32 vcc_lo, s10, v8
	s_delay_alu instid0(VALU_DEP_3) | instskip(NEXT) | instid1(VALU_DEP_3)
	v_subrev_co_ci_u32_e64 v13, null, 0, v10, s0
	v_cmp_le_u32_e64 s0, s10, v12
	v_add_nc_u64_e32 v[10:11], 2, v[6:7]
	v_cndmask_b32_e64 v16, 0, -1, vcc_lo
	s_delay_alu instid0(VALU_DEP_4) | instskip(SKIP_3) | instid1(VALU_DEP_1)
	v_cmp_eq_u32_e32 vcc_lo, s11, v13
	v_add_nc_u64_e32 v[8:9], 1, v[6:7]
	v_cndmask_b32_e64 v12, 0, -1, s0
	v_cmp_le_u32_e64 s0, s11, v13
	v_cndmask_b32_e64 v14, 0, -1, s0
	v_cmp_eq_u32_e64 s0, s11, v15
	s_delay_alu instid0(VALU_DEP_2) | instskip(SKIP_2) | instid1(VALU_DEP_3)
	v_cndmask_b32_e32 v12, v14, v12, vcc_lo
	v_cmp_le_u32_e32 vcc_lo, s11, v15
	v_cndmask_b32_e64 v13, 0, -1, vcc_lo
	v_cmp_ne_u32_e32 vcc_lo, 0, v12
	s_delay_alu instid0(VALU_DEP_2) | instskip(SKIP_1) | instid1(VALU_DEP_2)
	v_dual_cndmask_b32 v12, v13, v16, s0 :: v_dual_cndmask_b32 v8, v8, v10, vcc_lo
	v_cndmask_b32_e32 v9, v9, v11, vcc_lo
	v_cmp_ne_u32_e32 vcc_lo, 0, v12
	s_delay_alu instid0(VALU_DEP_2)
	v_dual_cndmask_b32 v8, v6, v8 :: v_dual_cndmask_b32 v9, v7, v9
.LBB14_7:
	s_and_not1_saveexec_b32 s0, s1
	s_cbranch_execz .LBB14_9
; %bb.8:
	v_cvt_f32_u32_e32 v6, s10
	s_sub_co_i32 s1, 0, s10
	s_delay_alu instid0(VALU_DEP_1) | instskip(SKIP_1) | instid1(TRANS32_DEP_1)
	v_rcp_iflag_f32_e32 v6, v6
	v_nop
	v_mul_f32_e32 v6, 0x4f7ffffe, v6
	s_delay_alu instid0(VALU_DEP_1) | instskip(NEXT) | instid1(VALU_DEP_1)
	v_cvt_u32_f32_e32 v6, v6
	v_mul_lo_u32 v7, s1, v6
	s_delay_alu instid0(VALU_DEP_1) | instskip(NEXT) | instid1(VALU_DEP_1)
	v_mul_hi_u32 v7, v6, v7
	v_add_nc_u32_e32 v6, v6, v7
	s_delay_alu instid0(VALU_DEP_1) | instskip(NEXT) | instid1(VALU_DEP_1)
	v_mul_hi_u32 v6, v4, v6
	v_mul_lo_u32 v7, v6, s10
	s_delay_alu instid0(VALU_DEP_1) | instskip(NEXT) | instid1(VALU_DEP_1)
	v_dual_add_nc_u32 v8, 1, v6 :: v_dual_sub_nc_u32 v7, v4, v7
	v_subrev_nc_u32_e32 v9, s10, v7
	v_cmp_le_u32_e32 vcc_lo, s10, v7
	s_delay_alu instid0(VALU_DEP_2) | instskip(NEXT) | instid1(VALU_DEP_4)
	v_dual_cndmask_b32 v7, v7, v9, vcc_lo :: v_dual_mov_b32 v9, 0
	v_cndmask_b32_e32 v6, v6, v8, vcc_lo
	s_delay_alu instid0(VALU_DEP_2) | instskip(NEXT) | instid1(VALU_DEP_2)
	v_cmp_le_u32_e32 vcc_lo, s10, v7
	v_add_nc_u32_e32 v8, 1, v6
	s_delay_alu instid0(VALU_DEP_1)
	v_cndmask_b32_e32 v8, v6, v8, vcc_lo
.LBB14_9:
	s_or_b32 exec_lo, exec_lo, s0
	s_delay_alu instid0(VALU_DEP_1) | instskip(SKIP_1) | instid1(VALU_DEP_1)
	v_mul_u64_e32 v[6:7], s[10:11], v[8:9]
	v_mad_nc_u64_u32 v[8:9], v2, s6, v[8:9]
	v_mad_u32 v3, v3, s6, v9
	s_delay_alu instid0(VALU_DEP_1) | instskip(NEXT) | instid1(VALU_DEP_4)
	v_mad_u32 v2, v2, s7, v3
	v_sub_nc_u64_e32 v[4:5], v[4:5], v[6:7]
	s_delay_alu instid0(VALU_DEP_1) | instskip(NEXT) | instid1(VALU_DEP_1)
	v_mad_nc_u64_u32 v[4:5], v8, s4, v[4:5]
	v_mad_u32 v2, v2, s4, v5
	s_delay_alu instid0(VALU_DEP_2) | instskip(NEXT) | instid1(VALU_DEP_2)
	v_cvt_f64_u32_e32 v[6:7], v4
	v_mad_u32 v5, v8, s5, v2
                                        ; implicit-def: $vgpr8
	s_delay_alu instid0(VALU_DEP_1) | instskip(SKIP_1) | instid1(VALU_DEP_2)
	v_cvt_f64_u32_e32 v[2:3], v5
	v_cmp_lt_u64_e32 vcc_lo, 0x3fffffff, v[4:5]
                                        ; implicit-def: $vgpr4_vgpr5
	v_ldexp_f64 v[2:3], v[2:3], 32
	s_delay_alu instid0(VALU_DEP_1) | instskip(SKIP_1) | instid1(SALU_CYCLE_1)
	v_add_f64_e32 v[2:3], v[2:3], v[6:7]
                                        ; implicit-def: $vgpr6_vgpr7
	s_and_saveexec_b32 s0, vcc_lo
	s_xor_b32 s0, exec_lo, s0
	s_cbranch_execz .LBB14_11
; %bb.10:
	s_delay_alu instid0(VALU_DEP_1) | instskip(SKIP_3) | instid1(VALU_DEP_3)
	v_trig_preop_f64 v[4:5], v[2:3], 0
	v_trig_preop_f64 v[6:7], v[2:3], 1
	;; [unrolled: 1-line block ×3, first 2 shown]
	s_mov_b64 s[2:3], 0x3ff921fb54442d18
	v_dual_mul_f64 v[8:9], v[4:5], v[2:3] :: v_dual_mov_b32 v24, 0
	s_delay_alu instid0(VALU_DEP_3) | instskip(NEXT) | instid1(VALU_DEP_3)
	v_mul_f64_e32 v[10:11], v[6:7], v[2:3]
	v_mul_f64_e32 v[22:23], v[16:17], v[2:3]
	s_delay_alu instid0(VALU_DEP_3) | instskip(NEXT) | instid1(VALU_DEP_3)
	v_fma_f64 v[4:5], v[4:5], v[2:3], -v[8:9]
	v_fma_f64 v[6:7], v[6:7], v[2:3], -v[10:11]
	s_delay_alu instid0(VALU_DEP_3) | instskip(NEXT) | instid1(VALU_DEP_3)
	v_fma_f64 v[16:17], v[16:17], v[2:3], -v[22:23]
	v_add_f64_e32 v[12:13], v[10:11], v[4:5]
	s_delay_alu instid0(VALU_DEP_1) | instskip(SKIP_1) | instid1(VALU_DEP_2)
	v_add_f64_e64 v[14:15], v[12:13], -v[10:11]
	v_add_f64_e32 v[20:21], v[8:9], v[12:13]
	v_add_f64_e64 v[18:19], v[12:13], -v[14:15]
	v_add_f64_e64 v[4:5], v[4:5], -v[14:15]
	s_delay_alu instid0(VALU_DEP_3) | instskip(NEXT) | instid1(VALU_DEP_3)
	v_ldexp_f64 v[14:15], v[20:21], -2
	v_add_f64_e64 v[10:11], v[10:11], -v[18:19]
	v_add_f64_e32 v[18:19], v[22:23], v[6:7]
	s_delay_alu instid0(VALU_DEP_3) | instskip(NEXT) | instid1(VALU_DEP_3)
	v_cmp_neq_f64_e64 vcc_lo, 0x7ff00000, |v[14:15]|
	v_add_f64_e32 v[4:5], v[4:5], v[10:11]
	v_fract_f64_e32 v[10:11], v[14:15]
	s_delay_alu instid0(VALU_DEP_1) | instskip(NEXT) | instid1(VALU_DEP_1)
	v_ldexp_f64 v[10:11], v[10:11], 2
	v_dual_add_f64 v[8:9], v[20:21], -v[8:9] :: v_dual_cndmask_b32 v10, 0, v10, vcc_lo
	s_delay_alu instid0(VALU_DEP_1) | instskip(SKIP_1) | instid1(VALU_DEP_1)
	v_dual_add_f64 v[8:9], v[12:13], -v[8:9] :: v_dual_cndmask_b32 v11, 0, v11, vcc_lo
	v_add_f64_e32 v[12:13], v[18:19], v[4:5]
	v_add_f64_e32 v[14:15], v[8:9], v[12:13]
	v_add_f64_e64 v[26:27], v[12:13], -v[18:19]
	s_delay_alu instid0(VALU_DEP_2) | instskip(NEXT) | instid1(VALU_DEP_2)
	v_add_f64_e32 v[20:21], v[14:15], v[10:11]
	v_add_f64_e64 v[32:33], v[12:13], -v[26:27]
	v_add_f64_e64 v[4:5], v[4:5], -v[26:27]
	;; [unrolled: 1-line block ×3, first 2 shown]
	s_delay_alu instid0(VALU_DEP_4) | instskip(SKIP_1) | instid1(VALU_DEP_3)
	v_cmp_gt_f64_e32 vcc_lo, 0, v[20:21]
	v_add_f64_e64 v[20:21], v[18:19], -v[22:23]
	v_add_f64_e64 v[8:9], v[12:13], -v[8:9]
	v_cndmask_b32_e64 v25, 0, 0x40100000, vcc_lo
	s_delay_alu instid0(VALU_DEP_3) | instskip(SKIP_2) | instid1(VALU_DEP_4)
	v_add_f64_e64 v[30:31], v[18:19], -v[20:21]
	v_add_f64_e64 v[6:7], v[6:7], -v[20:21]
	;; [unrolled: 1-line block ×3, first 2 shown]
	v_add_f64_e32 v[10:11], v[10:11], v[24:25]
	s_delay_alu instid0(VALU_DEP_4) | instskip(NEXT) | instid1(VALU_DEP_3)
	v_add_f64_e64 v[20:21], v[22:23], -v[30:31]
	v_add_f64_e32 v[4:5], v[4:5], v[18:19]
	s_delay_alu instid0(VALU_DEP_3) | instskip(NEXT) | instid1(VALU_DEP_3)
	v_add_f64_e32 v[28:29], v[14:15], v[10:11]
	v_add_f64_e32 v[6:7], v[6:7], v[20:21]
	s_delay_alu instid0(VALU_DEP_2) | instskip(NEXT) | instid1(VALU_DEP_2)
	v_cvt_i32_f64_e32 v25, v[28:29]
	v_add_f64_e32 v[4:5], v[6:7], v[4:5]
	s_delay_alu instid0(VALU_DEP_2) | instskip(NEXT) | instid1(VALU_DEP_2)
	v_cvt_f64_i32_e32 v[26:27], v25
	v_add_f64_e32 v[4:5], v[16:17], v[4:5]
	s_delay_alu instid0(VALU_DEP_2) | instskip(NEXT) | instid1(VALU_DEP_2)
	v_add_f64_e64 v[10:11], v[10:11], -v[26:27]
	v_add_f64_e32 v[4:5], v[8:9], v[4:5]
	s_delay_alu instid0(VALU_DEP_2) | instskip(NEXT) | instid1(VALU_DEP_1)
	v_add_f64_e32 v[6:7], v[14:15], v[10:11]
	v_add_f64_e64 v[10:11], v[6:7], -v[10:11]
	v_cmp_le_f64_e32 vcc_lo, 0.5, v[6:7]
	s_delay_alu instid0(VALU_DEP_2) | instskip(SKIP_2) | instid1(VALU_DEP_1)
	v_add_f64_e64 v[10:11], v[14:15], -v[10:11]
	v_add_co_ci_u32_e64 v8, null, 0, v25, vcc_lo
	v_cndmask_b32_e64 v25, 0, 0x3ff00000, vcc_lo
	v_add_f64_e64 v[6:7], v[6:7], -v[24:25]
	s_delay_alu instid0(VALU_DEP_4) | instskip(NEXT) | instid1(VALU_DEP_1)
	v_add_f64_e32 v[4:5], v[4:5], v[10:11]
	v_add_f64_e32 v[10:11], v[6:7], v[4:5]
	s_delay_alu instid0(VALU_DEP_1) | instskip(SKIP_1) | instid1(VALU_DEP_2)
	v_mul_f64_e32 v[12:13], 0x3ff921fb54442d18, v[10:11]
	v_add_f64_e64 v[6:7], v[10:11], -v[6:7]
	v_fma_f64 v[14:15], v[10:11], s[2:3], -v[12:13]
	s_delay_alu instid0(VALU_DEP_2) | instskip(NEXT) | instid1(VALU_DEP_2)
	v_add_f64_e64 v[4:5], v[4:5], -v[6:7]
	v_fmamk_f64 v[6:7], v[10:11], 0x3c91a62633145c07, v[14:15]
	s_delay_alu instid0(VALU_DEP_1) | instskip(NEXT) | instid1(VALU_DEP_1)
	v_fmac_f64_e32 v[6:7], 0x3ff921fb54442d18, v[4:5]
	v_add_f64_e32 v[4:5], v[12:13], v[6:7]
	s_delay_alu instid0(VALU_DEP_1) | instskip(NEXT) | instid1(VALU_DEP_1)
	v_add_f64_e64 v[10:11], v[4:5], -v[12:13]
	v_add_f64_e64 v[6:7], v[6:7], -v[10:11]
.LBB14_11:
	s_and_not1_saveexec_b32 s0, s0
	s_cbranch_execz .LBB14_13
; %bb.12:
	s_delay_alu instid0(VALU_DEP_1) | instskip(NEXT) | instid1(VALU_DEP_1)
	v_mul_f64_e32 v[4:5], 0x3fe45f306dc9c883, v[2:3]
	v_rndne_f64_e32 v[8:9], v[4:5]
	s_delay_alu instid0(VALU_DEP_1) | instskip(SKIP_1) | instid1(VALU_DEP_1)
	v_mul_f64_e32 v[4:5], 0xbc91a62633145c00, v[8:9]
	v_fmamk_f64 v[6:7], v[8:9], 0xbff921fb54442d18, v[2:3]
	v_add_f64_e32 v[10:11], v[6:7], v[4:5]
	s_delay_alu instid0(VALU_DEP_1) | instskip(SKIP_1) | instid1(VALU_DEP_1)
	v_add_f64_e64 v[12:13], v[6:7], -v[10:11]
	v_fmamk_f64 v[6:7], v[8:9], 0xbc91a62633145c00, v[6:7]
	v_add_f64_e64 v[10:11], v[10:11], -v[6:7]
	s_delay_alu instid0(VALU_DEP_3) | instskip(SKIP_1) | instid1(VALU_DEP_2)
	v_add_f64_e32 v[12:13], v[12:13], v[4:5]
	v_fmamk_f64 v[4:5], v[8:9], 0x3c91a62633145c00, v[4:5]
	v_add_f64_e32 v[10:11], v[10:11], v[12:13]
	s_delay_alu instid0(VALU_DEP_1) | instskip(NEXT) | instid1(VALU_DEP_1)
	v_add_f64_e64 v[4:5], v[10:11], -v[4:5]
	v_fmamk_f64 v[10:11], v[8:9], 0xb97b839a252049c0, v[4:5]
	v_cvt_i32_f64_e32 v8, v[8:9]
	s_delay_alu instid0(VALU_DEP_2) | instskip(NEXT) | instid1(VALU_DEP_1)
	v_add_f64_e32 v[4:5], v[6:7], v[10:11]
	v_add_f64_e64 v[6:7], v[4:5], -v[6:7]
	s_delay_alu instid0(VALU_DEP_1)
	v_add_f64_e64 v[6:7], v[10:11], -v[6:7]
.LBB14_13:
	s_or_b32 exec_lo, exec_lo, s0
	v_mul_f64_e32 v[10:11], v[4:5], v[4:5]
	s_delay_alu instid0(VALU_DEP_2) | instskip(SKIP_3) | instid1(VALU_DEP_1)
	v_mul_f64_e32 v[18:19], 0.5, v[6:7]
	s_mov_b64 s[0:1], 0x3de5e0b2f9a43bb8
	v_lshl_add_u64 v[0:1], v[0:1], 3, s[12:13]
	v_dual_lshlrev_b32 v8, 30, v8 :: v_dual_bitop2_b32 v2, 1, v8 bitop3:0x40
	v_cmp_eq_u32_e32 vcc_lo, 0, v2
	s_delay_alu instid0(VALU_DEP_2) | instskip(SKIP_4) | instid1(VALU_DEP_3)
	v_xor_b32_e32 v3, v8, v3
	v_mul_f64_e32 v[12:13], 0.5, v[10:11]
	v_mul_f64_e64 v[20:21], v[4:5], -v[10:11]
	v_fmaak_f64 v[22:23], s[0:1], v[10:11], 0xbe5ae600b42fdfa7
	s_mov_b64 s[0:1], 0xbda907db46cc5e42
	v_add_f64_e64 v[14:15], -v[12:13], 1.0
	s_delay_alu instid0(VALU_DEP_1) | instskip(NEXT) | instid1(VALU_DEP_1)
	v_add_f64_e64 v[16:17], -v[14:15], 1.0
	v_add_f64_e64 v[12:13], v[16:17], -v[12:13]
	s_delay_alu instid0(VALU_DEP_4) | instskip(SKIP_1) | instid1(VALU_DEP_2)
	v_fmaak_f64 v[16:17], v[10:11], v[22:23], 0x3ec71de3796cde01
	v_mul_f64_e32 v[22:23], v[10:11], v[10:11]
	v_fmaak_f64 v[16:17], v[10:11], v[16:17], 0xbf2a01a019e83e5c
	s_delay_alu instid0(VALU_DEP_1) | instskip(NEXT) | instid1(VALU_DEP_1)
	v_fmaak_f64 v[16:17], v[10:11], v[16:17], 0x3f81111111110bb3
	v_fmac_f64_e32 v[18:19], v[20:21], v[16:17]
	v_fmaak_f64 v[16:17], s[0:1], v[10:11], 0x3e21eeb69037ab78
	s_delay_alu instid0(VALU_DEP_1) | instskip(SKIP_1) | instid1(VALU_DEP_2)
	v_fmaak_f64 v[16:17], v[10:11], v[16:17], 0xbe927e4fa17f65f6
	v_fma_f64 v[12:13], v[4:5], -v[6:7], v[12:13]
	v_fmaak_f64 v[16:17], v[10:11], v[16:17], 0x3efa01a019f4ec90
	s_delay_alu instid0(VALU_DEP_1) | instskip(SKIP_1) | instid1(VALU_DEP_2)
	v_fmaak_f64 v[16:17], v[10:11], v[16:17], 0xbf56c16c16c16967
	v_fma_f64 v[6:7], v[10:11], v[18:19], -v[6:7]
	v_fmaak_f64 v[10:11], v[10:11], v[16:17], 0x3fa5555555555555
	s_delay_alu instid0(VALU_DEP_1) | instskip(NEXT) | instid1(VALU_DEP_3)
	v_fmac_f64_e32 v[12:13], v[22:23], v[10:11]
	v_fmamk_f64 v[6:7], v[20:21], 0xbfc5555555555555, v[6:7]
	s_delay_alu instid0(VALU_DEP_1) | instskip(NEXT) | instid1(VALU_DEP_3)
	v_add_f64_e64 v[4:5], v[4:5], -v[6:7]
	v_add_f64_e32 v[6:7], v[14:15], v[12:13]
	s_delay_alu instid0(VALU_DEP_1) | instskip(NEXT) | instid1(VALU_DEP_1)
	v_dual_cndmask_b32 v2, v6, v4, vcc_lo :: v_dual_cndmask_b32 v4, v7, v5, vcc_lo
	v_bitop3_b32 v3, v4, v3, 0x80000000 bitop3:0x78
	global_store_b64 v[0:1], v[2:3], off
.LBB14_14:
	s_endpgm
	.section	.rodata,"a",@progbits
	.p2align	6, 0x0
	.amdhsa_kernel _Z11fill_kernelIdZ21hipblaslt_init_deviceIdEv8ABC_dims24hipblaslt_initializationbPT_mmmmmEUlmE2_EvS4_mmT0_
		.amdhsa_group_segment_fixed_size 0
		.amdhsa_private_segment_fixed_size 0
		.amdhsa_kernarg_size 312
		.amdhsa_user_sgpr_count 2
		.amdhsa_user_sgpr_dispatch_ptr 0
		.amdhsa_user_sgpr_queue_ptr 0
		.amdhsa_user_sgpr_kernarg_segment_ptr 1
		.amdhsa_user_sgpr_dispatch_id 0
		.amdhsa_user_sgpr_kernarg_preload_length 0
		.amdhsa_user_sgpr_kernarg_preload_offset 0
		.amdhsa_user_sgpr_private_segment_size 0
		.amdhsa_wavefront_size32 1
		.amdhsa_uses_dynamic_stack 0
		.amdhsa_enable_private_segment 0
		.amdhsa_system_sgpr_workgroup_id_x 1
		.amdhsa_system_sgpr_workgroup_id_y 0
		.amdhsa_system_sgpr_workgroup_id_z 0
		.amdhsa_system_sgpr_workgroup_info 0
		.amdhsa_system_vgpr_workitem_id 0
		.amdhsa_next_free_vgpr 34
		.amdhsa_next_free_sgpr 24
		.amdhsa_named_barrier_count 0
		.amdhsa_reserve_vcc 1
		.amdhsa_float_round_mode_32 0
		.amdhsa_float_round_mode_16_64 0
		.amdhsa_float_denorm_mode_32 3
		.amdhsa_float_denorm_mode_16_64 3
		.amdhsa_fp16_overflow 0
		.amdhsa_memory_ordered 1
		.amdhsa_forward_progress 1
		.amdhsa_inst_pref_size 22
		.amdhsa_round_robin_scheduling 0
		.amdhsa_exception_fp_ieee_invalid_op 0
		.amdhsa_exception_fp_denorm_src 0
		.amdhsa_exception_fp_ieee_div_zero 0
		.amdhsa_exception_fp_ieee_overflow 0
		.amdhsa_exception_fp_ieee_underflow 0
		.amdhsa_exception_fp_ieee_inexact 0
		.amdhsa_exception_int_div_zero 0
	.end_amdhsa_kernel
	.section	.text._Z11fill_kernelIdZ21hipblaslt_init_deviceIdEv8ABC_dims24hipblaslt_initializationbPT_mmmmmEUlmE2_EvS4_mmT0_,"axG",@progbits,_Z11fill_kernelIdZ21hipblaslt_init_deviceIdEv8ABC_dims24hipblaslt_initializationbPT_mmmmmEUlmE2_EvS4_mmT0_,comdat
.Lfunc_end14:
	.size	_Z11fill_kernelIdZ21hipblaslt_init_deviceIdEv8ABC_dims24hipblaslt_initializationbPT_mmmmmEUlmE2_EvS4_mmT0_, .Lfunc_end14-_Z11fill_kernelIdZ21hipblaslt_init_deviceIdEv8ABC_dims24hipblaslt_initializationbPT_mmmmmEUlmE2_EvS4_mmT0_
                                        ; -- End function
	.set _Z11fill_kernelIdZ21hipblaslt_init_deviceIdEv8ABC_dims24hipblaslt_initializationbPT_mmmmmEUlmE2_EvS4_mmT0_.num_vgpr, 34
	.set _Z11fill_kernelIdZ21hipblaslt_init_deviceIdEv8ABC_dims24hipblaslt_initializationbPT_mmmmmEUlmE2_EvS4_mmT0_.num_agpr, 0
	.set _Z11fill_kernelIdZ21hipblaslt_init_deviceIdEv8ABC_dims24hipblaslt_initializationbPT_mmmmmEUlmE2_EvS4_mmT0_.numbered_sgpr, 24
	.set _Z11fill_kernelIdZ21hipblaslt_init_deviceIdEv8ABC_dims24hipblaslt_initializationbPT_mmmmmEUlmE2_EvS4_mmT0_.num_named_barrier, 0
	.set _Z11fill_kernelIdZ21hipblaslt_init_deviceIdEv8ABC_dims24hipblaslt_initializationbPT_mmmmmEUlmE2_EvS4_mmT0_.private_seg_size, 0
	.set _Z11fill_kernelIdZ21hipblaslt_init_deviceIdEv8ABC_dims24hipblaslt_initializationbPT_mmmmmEUlmE2_EvS4_mmT0_.uses_vcc, 1
	.set _Z11fill_kernelIdZ21hipblaslt_init_deviceIdEv8ABC_dims24hipblaslt_initializationbPT_mmmmmEUlmE2_EvS4_mmT0_.uses_flat_scratch, 0
	.set _Z11fill_kernelIdZ21hipblaslt_init_deviceIdEv8ABC_dims24hipblaslt_initializationbPT_mmmmmEUlmE2_EvS4_mmT0_.has_dyn_sized_stack, 0
	.set _Z11fill_kernelIdZ21hipblaslt_init_deviceIdEv8ABC_dims24hipblaslt_initializationbPT_mmmmmEUlmE2_EvS4_mmT0_.has_recursion, 0
	.set _Z11fill_kernelIdZ21hipblaslt_init_deviceIdEv8ABC_dims24hipblaslt_initializationbPT_mmmmmEUlmE2_EvS4_mmT0_.has_indirect_call, 0
	.section	.AMDGPU.csdata,"",@progbits
; Kernel info:
; codeLenInByte = 2748
; TotalNumSgprs: 26
; NumVgprs: 34
; ScratchSize: 0
; MemoryBound: 0
; FloatMode: 240
; IeeeMode: 1
; LDSByteSize: 0 bytes/workgroup (compile time only)
; SGPRBlocks: 0
; VGPRBlocks: 2
; NumSGPRsForWavesPerEU: 26
; NumVGPRsForWavesPerEU: 34
; NamedBarCnt: 0
; Occupancy: 16
; WaveLimiterHint : 0
; COMPUTE_PGM_RSRC2:SCRATCH_EN: 0
; COMPUTE_PGM_RSRC2:USER_SGPR: 2
; COMPUTE_PGM_RSRC2:TRAP_HANDLER: 0
; COMPUTE_PGM_RSRC2:TGID_X_EN: 1
; COMPUTE_PGM_RSRC2:TGID_Y_EN: 0
; COMPUTE_PGM_RSRC2:TGID_Z_EN: 0
; COMPUTE_PGM_RSRC2:TIDIG_COMP_CNT: 0
	.section	.text._Z11fill_kernelIdZ21hipblaslt_init_deviceIdEv8ABC_dims24hipblaslt_initializationbPT_mmmmmEUlmE3_EvS4_mmT0_,"axG",@progbits,_Z11fill_kernelIdZ21hipblaslt_init_deviceIdEv8ABC_dims24hipblaslt_initializationbPT_mmmmmEUlmE3_EvS4_mmT0_,comdat
	.protected	_Z11fill_kernelIdZ21hipblaslt_init_deviceIdEv8ABC_dims24hipblaslt_initializationbPT_mmmmmEUlmE3_EvS4_mmT0_ ; -- Begin function _Z11fill_kernelIdZ21hipblaslt_init_deviceIdEv8ABC_dims24hipblaslt_initializationbPT_mmmmmEUlmE3_EvS4_mmT0_
	.globl	_Z11fill_kernelIdZ21hipblaslt_init_deviceIdEv8ABC_dims24hipblaslt_initializationbPT_mmmmmEUlmE3_EvS4_mmT0_
	.p2align	8
	.type	_Z11fill_kernelIdZ21hipblaslt_init_deviceIdEv8ABC_dims24hipblaslt_initializationbPT_mmmmmEUlmE3_EvS4_mmT0_,@function
_Z11fill_kernelIdZ21hipblaslt_init_deviceIdEv8ABC_dims24hipblaslt_initializationbPT_mmmmmEUlmE3_EvS4_mmT0_: ; @_Z11fill_kernelIdZ21hipblaslt_init_deviceIdEv8ABC_dims24hipblaslt_initializationbPT_mmmmmEUlmE3_EvS4_mmT0_
; %bb.0:
	s_clause 0x1
	s_load_b32 s2, s[0:1], 0x44
	s_load_b128 s[12:15], s[0:1], 0x0
	s_bfe_u32 s3, ttmp6, 0x4000c
	s_and_b32 s4, ttmp6, 15
	s_add_co_i32 s3, s3, 1
	s_getreg_b32 s5, hwreg(HW_REG_IB_STS2, 6, 4)
	s_mul_i32 s3, ttmp9, s3
	v_mov_b32_e32 v3, 0
	s_add_co_i32 s4, s4, s3
	s_wait_kmcnt 0x0
	s_and_b32 s2, s2, 0xffff
	s_cmp_eq_u32 s5, 0
	s_cselect_b32 s3, ttmp9, s4
	s_delay_alu instid0(SALU_CYCLE_1) | instskip(SKIP_1) | instid1(VALU_DEP_1)
	v_mad_u32 v2, s3, s2, v0
	s_mov_b32 s2, exec_lo
	v_cmpx_gt_u64_e64 s[14:15], v[2:3]
	s_cbranch_execz .LBB15_14
; %bb.1:
	s_clause 0x1
	s_load_b64 s[2:3], s[0:1], 0x10
	s_load_b256 s[4:11], s[0:1], 0x18
	s_wait_xcnt 0x0
	s_mov_b32 s0, exec_lo
	v_mov_b32_e32 v4, v3
	s_wait_kmcnt 0x0
	v_add_nc_u64_e32 v[0:1], s[2:3], v[2:3]
                                        ; implicit-def: $vgpr2_vgpr3
	s_delay_alu instid0(VALU_DEP_1) | instskip(NEXT) | instid1(VALU_DEP_1)
	v_or_b32_e32 v5, s9, v1
	v_cmpx_ne_u64_e32 0, v[4:5]
	s_xor_b32 s1, exec_lo, s0
	s_cbranch_execz .LBB15_3
; %bb.2:
	s_cvt_f32_u32 s0, s8
	s_cvt_f32_u32 s2, s9
	s_sub_nc_u64 s[14:15], 0, s[8:9]
	s_mov_b32 s19, 0
	v_dual_mov_b32 v3, 0 :: v_dual_mov_b32 v2, v0
	s_fmamk_f32 s0, s2, 0x4f800000, s0
	s_delay_alu instid0(SALU_CYCLE_3) | instskip(NEXT) | instid1(TRANS32_DEP_1)
	v_s_rcp_f32 s0, s0
	s_mul_f32 s0, s0, 0x5f7ffffc
	s_delay_alu instid0(SALU_CYCLE_3) | instskip(NEXT) | instid1(SALU_CYCLE_3)
	s_mul_f32 s2, s0, 0x2f800000
	s_trunc_f32 s2, s2
	s_delay_alu instid0(SALU_CYCLE_3) | instskip(SKIP_1) | instid1(SALU_CYCLE_2)
	s_fmamk_f32 s0, s2, 0xcf800000, s0
	s_cvt_u32_f32 s3, s2
	s_cvt_u32_f32 s2, s0
	s_delay_alu instid0(SALU_CYCLE_3) | instskip(NEXT) | instid1(SALU_CYCLE_1)
	s_mul_u64 s[16:17], s[14:15], s[2:3]
	s_mul_hi_u32 s21, s2, s17
	s_mul_i32 s20, s2, s17
	s_mul_hi_u32 s18, s2, s16
	s_mul_i32 s22, s3, s16
	s_add_nc_u64 s[20:21], s[18:19], s[20:21]
	s_mul_hi_u32 s0, s3, s16
	s_mul_hi_u32 s23, s3, s17
	s_mul_i32 s16, s3, s17
	s_add_co_u32 s17, s20, s22
	s_add_co_ci_u32 s18, s21, s0
	s_add_co_ci_u32 s17, s23, 0
	s_delay_alu instid0(SALU_CYCLE_1) | instskip(NEXT) | instid1(SALU_CYCLE_1)
	s_add_nc_u64 s[16:17], s[18:19], s[16:17]
	s_add_co_u32 s2, s2, s16
	s_cselect_b32 s0, -1, 0
	s_delay_alu instid0(SALU_CYCLE_1) | instskip(SKIP_1) | instid1(SALU_CYCLE_1)
	s_cmp_lg_u32 s0, 0
	s_add_co_ci_u32 s3, s3, s17
	s_mul_u64 s[14:15], s[14:15], s[2:3]
	s_delay_alu instid0(SALU_CYCLE_1)
	s_mul_hi_u32 s17, s2, s15
	s_mul_i32 s16, s2, s15
	s_mul_hi_u32 s18, s2, s14
	s_mul_i32 s20, s3, s14
	s_add_nc_u64 s[16:17], s[18:19], s[16:17]
	s_mul_hi_u32 s0, s3, s14
	s_mul_hi_u32 s21, s3, s15
	s_mul_i32 s14, s3, s15
	s_add_co_u32 s15, s16, s20
	s_add_co_ci_u32 s18, s17, s0
	s_add_co_ci_u32 s15, s21, 0
	s_delay_alu instid0(SALU_CYCLE_1) | instskip(NEXT) | instid1(SALU_CYCLE_1)
	s_add_nc_u64 s[14:15], s[18:19], s[14:15]
	s_add_co_u32 s0, s2, s14
	s_cselect_b32 s2, -1, 0
	s_delay_alu instid0(SALU_CYCLE_1)
	s_cmp_lg_u32 s2, 0
	s_add_co_ci_u32 s18, s3, s15
	s_mov_b64 s[2:3], 0xffffffff
	v_mul_u64_e32 v[4:5], s[18:19], v[2:3]
	v_mul_hi_u32 v2, v0, s0
	s_and_b64 s[2:3], s[0:1], s[2:3]
	s_delay_alu instid0(VALU_DEP_1) | instskip(SKIP_1) | instid1(VALU_DEP_1)
	v_add_nc_u64_e32 v[4:5], v[2:3], v[4:5]
	v_mov_b32_e32 v2, v1
	v_mul_u64_e32 v[6:7], s[2:3], v[2:3]
	v_mul_u64_e32 v[8:9], s[18:19], v[2:3]
	s_delay_alu instid0(VALU_DEP_2) | instskip(NEXT) | instid1(VALU_DEP_3)
	v_add_co_u32 v2, vcc_lo, v4, v6
	v_add_co_ci_u32_e32 v2, vcc_lo, v5, v7, vcc_lo
	s_delay_alu instid0(VALU_DEP_3) | instskip(NEXT) | instid1(VALU_DEP_1)
	v_add_co_ci_u32_e32 v9, vcc_lo, 0, v9, vcc_lo
	v_add_nc_u64_e32 v[2:3], v[2:3], v[8:9]
	s_delay_alu instid0(VALU_DEP_1) | instskip(NEXT) | instid1(VALU_DEP_1)
	v_mul_u64_e32 v[4:5], s[8:9], v[2:3]
	v_sub_nc_u32_e32 v6, v1, v5
	s_delay_alu instid0(VALU_DEP_2) | instskip(NEXT) | instid1(VALU_DEP_1)
	v_sub_co_u32 v4, vcc_lo, v0, v4
	v_sub_co_ci_u32_e64 v11, null, v1, v5, vcc_lo
	s_delay_alu instid0(VALU_DEP_3) | instskip(NEXT) | instid1(VALU_DEP_3)
	v_subrev_co_ci_u32_e64 v6, null, s9, v6, vcc_lo
	v_sub_co_u32 v8, s0, v4, s8
	v_cmp_le_u32_e32 vcc_lo, s8, v4
	s_delay_alu instid0(VALU_DEP_3) | instskip(NEXT) | instid1(VALU_DEP_3)
	v_subrev_co_ci_u32_e64 v9, null, 0, v6, s0
	v_cmp_le_u32_e64 s0, s8, v8
	v_add_nc_u64_e32 v[6:7], 2, v[2:3]
	v_cndmask_b32_e64 v12, 0, -1, vcc_lo
	s_delay_alu instid0(VALU_DEP_4) | instskip(SKIP_3) | instid1(VALU_DEP_1)
	v_cmp_eq_u32_e32 vcc_lo, s9, v9
	v_add_nc_u64_e32 v[4:5], 1, v[2:3]
	v_cndmask_b32_e64 v8, 0, -1, s0
	v_cmp_le_u32_e64 s0, s9, v9
	v_cndmask_b32_e64 v10, 0, -1, s0
	v_cmp_eq_u32_e64 s0, s9, v11
	s_delay_alu instid0(VALU_DEP_2) | instskip(SKIP_2) | instid1(VALU_DEP_3)
	v_cndmask_b32_e32 v8, v10, v8, vcc_lo
	v_cmp_le_u32_e32 vcc_lo, s9, v11
	v_cndmask_b32_e64 v9, 0, -1, vcc_lo
	v_cmp_ne_u32_e32 vcc_lo, 0, v8
	s_delay_alu instid0(VALU_DEP_2) | instskip(SKIP_1) | instid1(VALU_DEP_2)
	v_dual_cndmask_b32 v8, v9, v12, s0 :: v_dual_cndmask_b32 v4, v4, v6, vcc_lo
	v_cndmask_b32_e32 v5, v5, v7, vcc_lo
	v_cmp_ne_u32_e32 vcc_lo, 0, v8
	s_delay_alu instid0(VALU_DEP_2)
	v_dual_cndmask_b32 v3, v3, v5 :: v_dual_cndmask_b32 v2, v2, v4
.LBB15_3:
	s_and_not1_saveexec_b32 s0, s1
	s_cbranch_execz .LBB15_5
; %bb.4:
	v_cvt_f32_u32_e32 v2, s8
	s_sub_co_i32 s1, 0, s8
	s_delay_alu instid0(VALU_DEP_1) | instskip(SKIP_1) | instid1(TRANS32_DEP_1)
	v_rcp_iflag_f32_e32 v2, v2
	v_nop
	v_mul_f32_e32 v2, 0x4f7ffffe, v2
	s_delay_alu instid0(VALU_DEP_1) | instskip(NEXT) | instid1(VALU_DEP_1)
	v_cvt_u32_f32_e32 v2, v2
	v_mul_lo_u32 v3, s1, v2
	s_delay_alu instid0(VALU_DEP_1) | instskip(NEXT) | instid1(VALU_DEP_1)
	v_mul_hi_u32 v3, v2, v3
	v_add_nc_u32_e32 v2, v2, v3
	s_delay_alu instid0(VALU_DEP_1) | instskip(NEXT) | instid1(VALU_DEP_1)
	v_mul_hi_u32 v2, v0, v2
	v_mul_lo_u32 v3, v2, s8
	s_delay_alu instid0(VALU_DEP_1) | instskip(NEXT) | instid1(VALU_DEP_1)
	v_dual_add_nc_u32 v4, 1, v2 :: v_dual_sub_nc_u32 v3, v0, v3
	v_subrev_nc_u32_e32 v5, s8, v3
	v_cmp_le_u32_e32 vcc_lo, s8, v3
	s_delay_alu instid0(VALU_DEP_2) | instskip(NEXT) | instid1(VALU_DEP_1)
	v_dual_cndmask_b32 v3, v3, v5 :: v_dual_cndmask_b32 v2, v2, v4
	v_cmp_le_u32_e32 vcc_lo, s8, v3
	s_delay_alu instid0(VALU_DEP_2) | instskip(NEXT) | instid1(VALU_DEP_1)
	v_dual_mov_b32 v3, 0 :: v_dual_add_nc_u32 v4, 1, v2
	v_cndmask_b32_e32 v2, v2, v4, vcc_lo
.LBB15_5:
	s_or_b32 exec_lo, exec_lo, s0
	s_delay_alu instid0(VALU_DEP_1) | instskip(SKIP_2) | instid1(VALU_DEP_2)
	v_mul_u64_e32 v[4:5], s[8:9], v[2:3]
                                        ; implicit-def: $vgpr8_vgpr9
	s_mov_b32 s0, exec_lo
	v_mov_b32_e32 v6, 0
	v_sub_nc_u64_e32 v[4:5], v[0:1], v[4:5]
	s_delay_alu instid0(VALU_DEP_1) | instskip(NEXT) | instid1(VALU_DEP_1)
	v_or_b32_e32 v7, s11, v5
	v_cmpx_ne_u64_e32 0, v[6:7]
	s_xor_b32 s1, exec_lo, s0
	s_cbranch_execz .LBB15_7
; %bb.6:
	s_cvt_f32_u32 s0, s10
	s_cvt_f32_u32 s2, s11
	s_sub_nc_u64 s[8:9], 0, s[10:11]
	s_mov_b32 s17, 0
	v_dual_mov_b32 v8, v4 :: v_dual_mov_b32 v9, v6
	s_fmamk_f32 s0, s2, 0x4f800000, s0
	v_dual_mov_b32 v10, v5 :: v_dual_mov_b32 v11, v6
	v_dual_mov_b32 v15, v6 :: v_dual_mov_b32 v7, v6
	s_delay_alu instid0(SALU_CYCLE_1) | instskip(NEXT) | instid1(TRANS32_DEP_1)
	v_s_rcp_f32 s0, s0
	s_mul_f32 s0, s0, 0x5f7ffffc
	s_delay_alu instid0(SALU_CYCLE_3) | instskip(NEXT) | instid1(SALU_CYCLE_3)
	s_mul_f32 s2, s0, 0x2f800000
	s_trunc_f32 s2, s2
	s_delay_alu instid0(SALU_CYCLE_3) | instskip(SKIP_1) | instid1(SALU_CYCLE_2)
	s_fmamk_f32 s0, s2, 0xcf800000, s0
	s_cvt_u32_f32 s3, s2
	s_cvt_u32_f32 s2, s0
	s_delay_alu instid0(SALU_CYCLE_3) | instskip(NEXT) | instid1(SALU_CYCLE_1)
	s_mul_u64 s[14:15], s[8:9], s[2:3]
	s_mul_hi_u32 s19, s2, s15
	s_mul_i32 s18, s2, s15
	s_mul_hi_u32 s16, s2, s14
	s_mul_i32 s20, s3, s14
	s_add_nc_u64 s[18:19], s[16:17], s[18:19]
	s_mul_hi_u32 s0, s3, s14
	s_mul_hi_u32 s21, s3, s15
	s_mul_i32 s14, s3, s15
	s_add_co_u32 s15, s18, s20
	s_add_co_ci_u32 s16, s19, s0
	s_add_co_ci_u32 s15, s21, 0
	s_delay_alu instid0(SALU_CYCLE_1) | instskip(NEXT) | instid1(SALU_CYCLE_1)
	s_add_nc_u64 s[14:15], s[16:17], s[14:15]
	s_add_co_u32 s2, s2, s14
	s_cselect_b32 s0, -1, 0
	s_delay_alu instid0(SALU_CYCLE_1) | instskip(SKIP_1) | instid1(SALU_CYCLE_1)
	s_cmp_lg_u32 s0, 0
	s_add_co_ci_u32 s3, s3, s15
	s_mul_u64 s[8:9], s[8:9], s[2:3]
	s_delay_alu instid0(SALU_CYCLE_1)
	s_mul_hi_u32 s15, s2, s9
	s_mul_i32 s14, s2, s9
	s_mul_hi_u32 s16, s2, s8
	s_mul_i32 s18, s3, s8
	s_add_nc_u64 s[14:15], s[16:17], s[14:15]
	s_mul_hi_u32 s0, s3, s8
	s_mul_hi_u32 s19, s3, s9
	s_mul_i32 s8, s3, s9
	s_add_co_u32 s9, s14, s18
	s_add_co_ci_u32 s16, s15, s0
	s_add_co_ci_u32 s9, s19, 0
	s_delay_alu instid0(SALU_CYCLE_1) | instskip(NEXT) | instid1(SALU_CYCLE_1)
	s_add_nc_u64 s[8:9], s[16:17], s[8:9]
	s_add_co_u32 s0, s2, s8
	s_cselect_b32 s2, -1, 0
	v_nop
	v_mul_hi_u32 v14, v4, s0
	s_cmp_lg_u32 s2, 0
	s_add_co_ci_u32 s16, s3, s9
	s_mov_b64 s[2:3], 0xffffffff
	v_mul_u64_e32 v[8:9], s[16:17], v[8:9]
	s_and_b64 s[2:3], s[0:1], s[2:3]
	s_delay_alu instid0(SALU_CYCLE_1) | instskip(SKIP_1) | instid1(VALU_DEP_3)
	v_mul_u64_e32 v[12:13], s[2:3], v[10:11]
	v_mul_u64_e32 v[10:11], s[16:17], v[10:11]
	v_add_nc_u64_e32 v[8:9], v[14:15], v[8:9]
	s_delay_alu instid0(VALU_DEP_1) | instskip(NEXT) | instid1(VALU_DEP_2)
	v_add_co_u32 v6, vcc_lo, v8, v12
	v_add_co_ci_u32_e32 v6, vcc_lo, v9, v13, vcc_lo
	s_delay_alu instid0(VALU_DEP_4) | instskip(NEXT) | instid1(VALU_DEP_1)
	v_add_co_ci_u32_e32 v11, vcc_lo, 0, v11, vcc_lo
	v_add_nc_u64_e32 v[6:7], v[6:7], v[10:11]
	s_delay_alu instid0(VALU_DEP_1) | instskip(NEXT) | instid1(VALU_DEP_1)
	v_mul_u64_e32 v[8:9], s[10:11], v[6:7]
	v_sub_nc_u32_e32 v10, v5, v9
	s_delay_alu instid0(VALU_DEP_2) | instskip(NEXT) | instid1(VALU_DEP_1)
	v_sub_co_u32 v8, vcc_lo, v4, v8
	v_sub_co_ci_u32_e64 v15, null, v5, v9, vcc_lo
	s_delay_alu instid0(VALU_DEP_3) | instskip(NEXT) | instid1(VALU_DEP_3)
	v_subrev_co_ci_u32_e64 v10, null, s11, v10, vcc_lo
	v_sub_co_u32 v12, s0, v8, s10
	v_cmp_le_u32_e32 vcc_lo, s10, v8
	s_delay_alu instid0(VALU_DEP_3) | instskip(NEXT) | instid1(VALU_DEP_3)
	v_subrev_co_ci_u32_e64 v13, null, 0, v10, s0
	v_cmp_le_u32_e64 s0, s10, v12
	v_add_nc_u64_e32 v[10:11], 2, v[6:7]
	v_cndmask_b32_e64 v16, 0, -1, vcc_lo
	s_delay_alu instid0(VALU_DEP_4) | instskip(SKIP_3) | instid1(VALU_DEP_1)
	v_cmp_eq_u32_e32 vcc_lo, s11, v13
	v_add_nc_u64_e32 v[8:9], 1, v[6:7]
	v_cndmask_b32_e64 v12, 0, -1, s0
	v_cmp_le_u32_e64 s0, s11, v13
	v_cndmask_b32_e64 v14, 0, -1, s0
	v_cmp_eq_u32_e64 s0, s11, v15
	s_delay_alu instid0(VALU_DEP_2) | instskip(SKIP_2) | instid1(VALU_DEP_3)
	v_cndmask_b32_e32 v12, v14, v12, vcc_lo
	v_cmp_le_u32_e32 vcc_lo, s11, v15
	v_cndmask_b32_e64 v13, 0, -1, vcc_lo
	v_cmp_ne_u32_e32 vcc_lo, 0, v12
	s_delay_alu instid0(VALU_DEP_2) | instskip(SKIP_1) | instid1(VALU_DEP_2)
	v_dual_cndmask_b32 v12, v13, v16, s0 :: v_dual_cndmask_b32 v8, v8, v10, vcc_lo
	v_cndmask_b32_e32 v9, v9, v11, vcc_lo
	v_cmp_ne_u32_e32 vcc_lo, 0, v12
	s_delay_alu instid0(VALU_DEP_2)
	v_dual_cndmask_b32 v8, v6, v8 :: v_dual_cndmask_b32 v9, v7, v9
.LBB15_7:
	s_and_not1_saveexec_b32 s0, s1
	s_cbranch_execz .LBB15_9
; %bb.8:
	v_cvt_f32_u32_e32 v6, s10
	s_sub_co_i32 s1, 0, s10
	s_delay_alu instid0(VALU_DEP_1) | instskip(SKIP_1) | instid1(TRANS32_DEP_1)
	v_rcp_iflag_f32_e32 v6, v6
	v_nop
	v_mul_f32_e32 v6, 0x4f7ffffe, v6
	s_delay_alu instid0(VALU_DEP_1) | instskip(NEXT) | instid1(VALU_DEP_1)
	v_cvt_u32_f32_e32 v6, v6
	v_mul_lo_u32 v7, s1, v6
	s_delay_alu instid0(VALU_DEP_1) | instskip(NEXT) | instid1(VALU_DEP_1)
	v_mul_hi_u32 v7, v6, v7
	v_add_nc_u32_e32 v6, v6, v7
	s_delay_alu instid0(VALU_DEP_1) | instskip(NEXT) | instid1(VALU_DEP_1)
	v_mul_hi_u32 v6, v4, v6
	v_mul_lo_u32 v7, v6, s10
	s_delay_alu instid0(VALU_DEP_1) | instskip(NEXT) | instid1(VALU_DEP_1)
	v_dual_add_nc_u32 v8, 1, v6 :: v_dual_sub_nc_u32 v7, v4, v7
	v_subrev_nc_u32_e32 v9, s10, v7
	v_cmp_le_u32_e32 vcc_lo, s10, v7
	s_delay_alu instid0(VALU_DEP_2) | instskip(NEXT) | instid1(VALU_DEP_4)
	v_dual_cndmask_b32 v7, v7, v9, vcc_lo :: v_dual_mov_b32 v9, 0
	v_cndmask_b32_e32 v6, v6, v8, vcc_lo
	s_delay_alu instid0(VALU_DEP_2) | instskip(NEXT) | instid1(VALU_DEP_2)
	v_cmp_le_u32_e32 vcc_lo, s10, v7
	v_add_nc_u32_e32 v8, 1, v6
	s_delay_alu instid0(VALU_DEP_1)
	v_cndmask_b32_e32 v8, v6, v8, vcc_lo
.LBB15_9:
	s_or_b32 exec_lo, exec_lo, s0
	s_delay_alu instid0(VALU_DEP_1) | instskip(SKIP_1) | instid1(VALU_DEP_1)
	v_mul_u64_e32 v[6:7], s[10:11], v[8:9]
	v_mad_nc_u64_u32 v[8:9], v2, s6, v[8:9]
	v_mad_u32 v3, v3, s6, v9
	s_delay_alu instid0(VALU_DEP_1) | instskip(NEXT) | instid1(VALU_DEP_4)
	v_mad_u32 v2, v2, s7, v3
	v_sub_nc_u64_e32 v[4:5], v[4:5], v[6:7]
	s_delay_alu instid0(VALU_DEP_1) | instskip(NEXT) | instid1(VALU_DEP_1)
	v_mad_nc_u64_u32 v[4:5], v8, s4, v[4:5]
	v_mad_u32 v2, v2, s4, v5
	s_delay_alu instid0(VALU_DEP_2) | instskip(NEXT) | instid1(VALU_DEP_2)
	v_cvt_f64_u32_e32 v[6:7], v4
	v_mad_u32 v5, v8, s5, v2
                                        ; implicit-def: $vgpr8
	s_delay_alu instid0(VALU_DEP_1) | instskip(SKIP_1) | instid1(VALU_DEP_2)
	v_cvt_f64_u32_e32 v[2:3], v5
	v_cmp_lt_u64_e32 vcc_lo, 0x3fffffff, v[4:5]
                                        ; implicit-def: $vgpr4_vgpr5
	v_ldexp_f64 v[2:3], v[2:3], 32
	s_delay_alu instid0(VALU_DEP_1) | instskip(SKIP_1) | instid1(SALU_CYCLE_1)
	v_add_f64_e32 v[2:3], v[2:3], v[6:7]
                                        ; implicit-def: $vgpr6_vgpr7
	s_and_saveexec_b32 s0, vcc_lo
	s_xor_b32 s0, exec_lo, s0
	s_cbranch_execz .LBB15_11
; %bb.10:
	s_delay_alu instid0(VALU_DEP_1) | instskip(SKIP_3) | instid1(VALU_DEP_3)
	v_trig_preop_f64 v[4:5], v[2:3], 0
	v_trig_preop_f64 v[6:7], v[2:3], 1
	;; [unrolled: 1-line block ×3, first 2 shown]
	s_mov_b64 s[2:3], 0x3ff921fb54442d18
	v_dual_mul_f64 v[8:9], v[4:5], v[2:3] :: v_dual_mov_b32 v24, 0
	s_delay_alu instid0(VALU_DEP_3) | instskip(NEXT) | instid1(VALU_DEP_3)
	v_mul_f64_e32 v[10:11], v[6:7], v[2:3]
	v_mul_f64_e32 v[22:23], v[16:17], v[2:3]
	s_delay_alu instid0(VALU_DEP_3) | instskip(NEXT) | instid1(VALU_DEP_3)
	v_fma_f64 v[4:5], v[4:5], v[2:3], -v[8:9]
	v_fma_f64 v[6:7], v[6:7], v[2:3], -v[10:11]
	s_delay_alu instid0(VALU_DEP_3) | instskip(NEXT) | instid1(VALU_DEP_3)
	v_fma_f64 v[2:3], v[16:17], v[2:3], -v[22:23]
	v_add_f64_e32 v[12:13], v[10:11], v[4:5]
	s_delay_alu instid0(VALU_DEP_1) | instskip(SKIP_1) | instid1(VALU_DEP_2)
	v_add_f64_e64 v[14:15], v[12:13], -v[10:11]
	v_add_f64_e32 v[20:21], v[8:9], v[12:13]
	v_add_f64_e64 v[18:19], v[12:13], -v[14:15]
	v_add_f64_e64 v[4:5], v[4:5], -v[14:15]
	s_delay_alu instid0(VALU_DEP_3) | instskip(NEXT) | instid1(VALU_DEP_3)
	v_ldexp_f64 v[14:15], v[20:21], -2
	v_add_f64_e64 v[10:11], v[10:11], -v[18:19]
	v_add_f64_e32 v[18:19], v[22:23], v[6:7]
	s_delay_alu instid0(VALU_DEP_3) | instskip(NEXT) | instid1(VALU_DEP_3)
	v_cmp_neq_f64_e64 vcc_lo, 0x7ff00000, |v[14:15]|
	v_add_f64_e32 v[4:5], v[4:5], v[10:11]
	v_fract_f64_e32 v[10:11], v[14:15]
	s_delay_alu instid0(VALU_DEP_1) | instskip(NEXT) | instid1(VALU_DEP_1)
	v_ldexp_f64 v[10:11], v[10:11], 2
	v_dual_add_f64 v[8:9], v[20:21], -v[8:9] :: v_dual_cndmask_b32 v10, 0, v10, vcc_lo
	s_delay_alu instid0(VALU_DEP_1) | instskip(SKIP_1) | instid1(VALU_DEP_1)
	v_dual_add_f64 v[8:9], v[12:13], -v[8:9] :: v_dual_cndmask_b32 v11, 0, v11, vcc_lo
	v_add_f64_e32 v[12:13], v[18:19], v[4:5]
	v_add_f64_e32 v[14:15], v[8:9], v[12:13]
	v_add_f64_e64 v[26:27], v[12:13], -v[18:19]
	s_delay_alu instid0(VALU_DEP_2) | instskip(NEXT) | instid1(VALU_DEP_2)
	v_add_f64_e32 v[20:21], v[14:15], v[10:11]
	v_add_f64_e64 v[32:33], v[12:13], -v[26:27]
	v_add_f64_e64 v[4:5], v[4:5], -v[26:27]
	v_add_f64_e64 v[8:9], v[14:15], -v[8:9]
	s_delay_alu instid0(VALU_DEP_4) | instskip(SKIP_1) | instid1(VALU_DEP_3)
	v_cmp_gt_f64_e32 vcc_lo, 0, v[20:21]
	v_add_f64_e64 v[20:21], v[18:19], -v[22:23]
	v_add_f64_e64 v[8:9], v[12:13], -v[8:9]
	v_cndmask_b32_e64 v25, 0, 0x40100000, vcc_lo
	s_delay_alu instid0(VALU_DEP_3) | instskip(SKIP_2) | instid1(VALU_DEP_4)
	v_add_f64_e64 v[30:31], v[18:19], -v[20:21]
	v_add_f64_e64 v[6:7], v[6:7], -v[20:21]
	;; [unrolled: 1-line block ×3, first 2 shown]
	v_add_f64_e32 v[10:11], v[10:11], v[24:25]
	s_delay_alu instid0(VALU_DEP_4) | instskip(NEXT) | instid1(VALU_DEP_3)
	v_add_f64_e64 v[20:21], v[22:23], -v[30:31]
	v_add_f64_e32 v[4:5], v[4:5], v[18:19]
	s_delay_alu instid0(VALU_DEP_3) | instskip(NEXT) | instid1(VALU_DEP_3)
	v_add_f64_e32 v[28:29], v[14:15], v[10:11]
	v_add_f64_e32 v[6:7], v[6:7], v[20:21]
	s_delay_alu instid0(VALU_DEP_2) | instskip(NEXT) | instid1(VALU_DEP_2)
	v_cvt_i32_f64_e32 v25, v[28:29]
	v_add_f64_e32 v[4:5], v[6:7], v[4:5]
	s_delay_alu instid0(VALU_DEP_2) | instskip(NEXT) | instid1(VALU_DEP_2)
	v_cvt_f64_i32_e32 v[26:27], v25
	v_add_f64_e32 v[2:3], v[2:3], v[4:5]
	s_delay_alu instid0(VALU_DEP_2) | instskip(NEXT) | instid1(VALU_DEP_2)
	v_add_f64_e64 v[10:11], v[10:11], -v[26:27]
	v_add_f64_e32 v[2:3], v[8:9], v[2:3]
	s_delay_alu instid0(VALU_DEP_2) | instskip(NEXT) | instid1(VALU_DEP_1)
	v_add_f64_e32 v[6:7], v[14:15], v[10:11]
	v_add_f64_e64 v[4:5], v[6:7], -v[10:11]
	v_cmp_le_f64_e32 vcc_lo, 0.5, v[6:7]
	s_delay_alu instid0(VALU_DEP_2) | instskip(SKIP_2) | instid1(VALU_DEP_3)
	v_add_f64_e64 v[4:5], v[14:15], -v[4:5]
	v_add_co_ci_u32_e64 v8, null, 0, v25, vcc_lo
	v_cndmask_b32_e64 v25, 0, 0x3ff00000, vcc_lo
	v_add_f64_e32 v[2:3], v[2:3], v[4:5]
	s_delay_alu instid0(VALU_DEP_2) | instskip(NEXT) | instid1(VALU_DEP_1)
	v_add_f64_e64 v[4:5], v[6:7], -v[24:25]
	v_add_f64_e32 v[6:7], v[4:5], v[2:3]
	s_delay_alu instid0(VALU_DEP_1) | instskip(SKIP_1) | instid1(VALU_DEP_2)
	v_mul_f64_e32 v[10:11], 0x3ff921fb54442d18, v[6:7]
	v_add_f64_e64 v[4:5], v[6:7], -v[4:5]
	v_fma_f64 v[12:13], v[6:7], s[2:3], -v[10:11]
	s_delay_alu instid0(VALU_DEP_2) | instskip(NEXT) | instid1(VALU_DEP_2)
	v_add_f64_e64 v[2:3], v[2:3], -v[4:5]
	v_fmamk_f64 v[6:7], v[6:7], 0x3c91a62633145c07, v[12:13]
	s_delay_alu instid0(VALU_DEP_1) | instskip(NEXT) | instid1(VALU_DEP_1)
	v_fmac_f64_e32 v[6:7], 0x3ff921fb54442d18, v[2:3]
	v_add_f64_e32 v[4:5], v[10:11], v[6:7]
	s_delay_alu instid0(VALU_DEP_1) | instskip(NEXT) | instid1(VALU_DEP_1)
	v_add_f64_e64 v[2:3], v[4:5], -v[10:11]
	v_add_f64_e64 v[6:7], v[6:7], -v[2:3]
                                        ; implicit-def: $vgpr2_vgpr3
.LBB15_11:
	s_and_not1_saveexec_b32 s0, s0
	s_cbranch_execz .LBB15_13
; %bb.12:
	s_delay_alu instid0(VALU_DEP_1) | instskip(NEXT) | instid1(VALU_DEP_1)
	v_mul_f64_e32 v[4:5], 0x3fe45f306dc9c883, v[2:3]
	v_rndne_f64_e32 v[8:9], v[4:5]
	s_delay_alu instid0(VALU_DEP_1) | instskip(SKIP_1) | instid1(VALU_DEP_1)
	v_mul_f64_e32 v[4:5], 0xbc91a62633145c00, v[8:9]
	v_fmamk_f64 v[2:3], v[8:9], 0xbff921fb54442d18, v[2:3]
	v_add_f64_e32 v[6:7], v[2:3], v[4:5]
	s_delay_alu instid0(VALU_DEP_1) | instskip(SKIP_1) | instid1(VALU_DEP_1)
	v_add_f64_e64 v[10:11], v[2:3], -v[6:7]
	v_fmamk_f64 v[2:3], v[8:9], 0xbc91a62633145c00, v[2:3]
	v_add_f64_e64 v[6:7], v[6:7], -v[2:3]
	s_delay_alu instid0(VALU_DEP_3) | instskip(SKIP_1) | instid1(VALU_DEP_2)
	v_add_f64_e32 v[10:11], v[10:11], v[4:5]
	v_fmamk_f64 v[4:5], v[8:9], 0x3c91a62633145c00, v[4:5]
	v_add_f64_e32 v[6:7], v[6:7], v[10:11]
	s_delay_alu instid0(VALU_DEP_1) | instskip(NEXT) | instid1(VALU_DEP_1)
	v_add_f64_e64 v[4:5], v[6:7], -v[4:5]
	v_fmamk_f64 v[6:7], v[8:9], 0xb97b839a252049c0, v[4:5]
	v_cvt_i32_f64_e32 v8, v[8:9]
	s_delay_alu instid0(VALU_DEP_2) | instskip(NEXT) | instid1(VALU_DEP_1)
	v_add_f64_e32 v[4:5], v[2:3], v[6:7]
	v_add_f64_e64 v[2:3], v[4:5], -v[2:3]
	s_delay_alu instid0(VALU_DEP_1)
	v_add_f64_e64 v[6:7], v[6:7], -v[2:3]
.LBB15_13:
	s_or_b32 exec_lo, exec_lo, s0
	v_mul_f64_e32 v[2:3], v[4:5], v[4:5]
	s_delay_alu instid0(VALU_DEP_2) | instskip(SKIP_2) | instid1(VALU_DEP_3)
	v_mul_f64_e32 v[16:17], 0.5, v[6:7]
	s_mov_b64 s[0:1], 0x3de5e0b2f9a43bb8
	v_lshl_add_u64 v[0:1], v[0:1], 3, s[12:13]
	v_mul_f64_e32 v[10:11], 0.5, v[2:3]
	v_mul_f64_e64 v[18:19], v[4:5], -v[2:3]
	v_fmaak_f64 v[20:21], s[0:1], v[2:3], 0xbe5ae600b42fdfa7
	s_mov_b64 s[0:1], 0xbda907db46cc5e42
	s_delay_alu instid0(VALU_DEP_1) | instskip(NEXT) | instid1(VALU_DEP_4)
	v_fmaak_f64 v[20:21], v[2:3], v[20:21], 0x3ec71de3796cde01
	v_add_f64_e64 v[12:13], -v[10:11], 1.0
	s_delay_alu instid0(VALU_DEP_1) | instskip(NEXT) | instid1(VALU_DEP_1)
	v_add_f64_e64 v[14:15], -v[12:13], 1.0
	v_add_f64_e64 v[10:11], v[14:15], -v[10:11]
	s_delay_alu instid0(VALU_DEP_4) | instskip(SKIP_1) | instid1(VALU_DEP_2)
	v_fmaak_f64 v[14:15], v[2:3], v[20:21], 0xbf2a01a019e83e5c
	v_mul_f64_e32 v[20:21], v[2:3], v[2:3]
	v_fmaak_f64 v[14:15], v[2:3], v[14:15], 0x3f81111111110bb3
	s_delay_alu instid0(VALU_DEP_1) | instskip(SKIP_1) | instid1(VALU_DEP_1)
	v_fmac_f64_e32 v[16:17], v[18:19], v[14:15]
	v_fmaak_f64 v[14:15], s[0:1], v[2:3], 0x3e21eeb69037ab78
	v_fmaak_f64 v[14:15], v[2:3], v[14:15], 0xbe927e4fa17f65f6
	s_delay_alu instid0(VALU_DEP_1) | instskip(SKIP_1) | instid1(VALU_DEP_2)
	v_fmaak_f64 v[14:15], v[2:3], v[14:15], 0x3efa01a019f4ec90
	v_fma_f64 v[10:11], v[4:5], -v[6:7], v[10:11]
	v_fmaak_f64 v[14:15], v[2:3], v[14:15], 0xbf56c16c16c16967
	v_fma_f64 v[6:7], v[2:3], v[16:17], -v[6:7]
	s_delay_alu instid0(VALU_DEP_2) | instskip(NEXT) | instid1(VALU_DEP_1)
	v_fmaak_f64 v[2:3], v[2:3], v[14:15], 0x3fa5555555555555
	v_fmac_f64_e32 v[10:11], v[20:21], v[2:3]
	s_delay_alu instid0(VALU_DEP_3) | instskip(SKIP_1) | instid1(VALU_DEP_1)
	v_fmamk_f64 v[2:3], v[18:19], 0xbfc5555555555555, v[6:7]
	v_and_b32_e32 v6, 1, v8
	v_cmp_eq_u32_e32 vcc_lo, 0, v6
	s_delay_alu instid0(VALU_DEP_3) | instskip(SKIP_1) | instid1(VALU_DEP_2)
	v_dual_add_f64 v[2:3], v[4:5], -v[2:3] :: v_dual_lshlrev_b32 v6, 30, v8
	v_add_f64_e32 v[4:5], v[12:13], v[10:11]
	v_xor_b32_e32 v3, 0x80000000, v3
	s_delay_alu instid0(VALU_DEP_1) | instskip(NEXT) | instid1(VALU_DEP_1)
	v_dual_cndmask_b32 v3, v3, v5 :: v_dual_cndmask_b32 v2, v2, v4
	v_bitop3_b32 v3, v3, v6, 0x80000000 bitop3:0x78
	global_store_b64 v[0:1], v[2:3], off
.LBB15_14:
	s_endpgm
	.section	.rodata,"a",@progbits
	.p2align	6, 0x0
	.amdhsa_kernel _Z11fill_kernelIdZ21hipblaslt_init_deviceIdEv8ABC_dims24hipblaslt_initializationbPT_mmmmmEUlmE3_EvS4_mmT0_
		.amdhsa_group_segment_fixed_size 0
		.amdhsa_private_segment_fixed_size 0
		.amdhsa_kernarg_size 312
		.amdhsa_user_sgpr_count 2
		.amdhsa_user_sgpr_dispatch_ptr 0
		.amdhsa_user_sgpr_queue_ptr 0
		.amdhsa_user_sgpr_kernarg_segment_ptr 1
		.amdhsa_user_sgpr_dispatch_id 0
		.amdhsa_user_sgpr_kernarg_preload_length 0
		.amdhsa_user_sgpr_kernarg_preload_offset 0
		.amdhsa_user_sgpr_private_segment_size 0
		.amdhsa_wavefront_size32 1
		.amdhsa_uses_dynamic_stack 0
		.amdhsa_enable_private_segment 0
		.amdhsa_system_sgpr_workgroup_id_x 1
		.amdhsa_system_sgpr_workgroup_id_y 0
		.amdhsa_system_sgpr_workgroup_id_z 0
		.amdhsa_system_sgpr_workgroup_info 0
		.amdhsa_system_vgpr_workitem_id 0
		.amdhsa_next_free_vgpr 34
		.amdhsa_next_free_sgpr 24
		.amdhsa_named_barrier_count 0
		.amdhsa_reserve_vcc 1
		.amdhsa_float_round_mode_32 0
		.amdhsa_float_round_mode_16_64 0
		.amdhsa_float_denorm_mode_32 3
		.amdhsa_float_denorm_mode_16_64 3
		.amdhsa_fp16_overflow 0
		.amdhsa_memory_ordered 1
		.amdhsa_forward_progress 1
		.amdhsa_inst_pref_size 22
		.amdhsa_round_robin_scheduling 0
		.amdhsa_exception_fp_ieee_invalid_op 0
		.amdhsa_exception_fp_denorm_src 0
		.amdhsa_exception_fp_ieee_div_zero 0
		.amdhsa_exception_fp_ieee_overflow 0
		.amdhsa_exception_fp_ieee_underflow 0
		.amdhsa_exception_fp_ieee_inexact 0
		.amdhsa_exception_int_div_zero 0
	.end_amdhsa_kernel
	.section	.text._Z11fill_kernelIdZ21hipblaslt_init_deviceIdEv8ABC_dims24hipblaslt_initializationbPT_mmmmmEUlmE3_EvS4_mmT0_,"axG",@progbits,_Z11fill_kernelIdZ21hipblaslt_init_deviceIdEv8ABC_dims24hipblaslt_initializationbPT_mmmmmEUlmE3_EvS4_mmT0_,comdat
.Lfunc_end15:
	.size	_Z11fill_kernelIdZ21hipblaslt_init_deviceIdEv8ABC_dims24hipblaslt_initializationbPT_mmmmmEUlmE3_EvS4_mmT0_, .Lfunc_end15-_Z11fill_kernelIdZ21hipblaslt_init_deviceIdEv8ABC_dims24hipblaslt_initializationbPT_mmmmmEUlmE3_EvS4_mmT0_
                                        ; -- End function
	.set _Z11fill_kernelIdZ21hipblaslt_init_deviceIdEv8ABC_dims24hipblaslt_initializationbPT_mmmmmEUlmE3_EvS4_mmT0_.num_vgpr, 34
	.set _Z11fill_kernelIdZ21hipblaslt_init_deviceIdEv8ABC_dims24hipblaslt_initializationbPT_mmmmmEUlmE3_EvS4_mmT0_.num_agpr, 0
	.set _Z11fill_kernelIdZ21hipblaslt_init_deviceIdEv8ABC_dims24hipblaslt_initializationbPT_mmmmmEUlmE3_EvS4_mmT0_.numbered_sgpr, 24
	.set _Z11fill_kernelIdZ21hipblaslt_init_deviceIdEv8ABC_dims24hipblaslt_initializationbPT_mmmmmEUlmE3_EvS4_mmT0_.num_named_barrier, 0
	.set _Z11fill_kernelIdZ21hipblaslt_init_deviceIdEv8ABC_dims24hipblaslt_initializationbPT_mmmmmEUlmE3_EvS4_mmT0_.private_seg_size, 0
	.set _Z11fill_kernelIdZ21hipblaslt_init_deviceIdEv8ABC_dims24hipblaslt_initializationbPT_mmmmmEUlmE3_EvS4_mmT0_.uses_vcc, 1
	.set _Z11fill_kernelIdZ21hipblaslt_init_deviceIdEv8ABC_dims24hipblaslt_initializationbPT_mmmmmEUlmE3_EvS4_mmT0_.uses_flat_scratch, 0
	.set _Z11fill_kernelIdZ21hipblaslt_init_deviceIdEv8ABC_dims24hipblaslt_initializationbPT_mmmmmEUlmE3_EvS4_mmT0_.has_dyn_sized_stack, 0
	.set _Z11fill_kernelIdZ21hipblaslt_init_deviceIdEv8ABC_dims24hipblaslt_initializationbPT_mmmmmEUlmE3_EvS4_mmT0_.has_recursion, 0
	.set _Z11fill_kernelIdZ21hipblaslt_init_deviceIdEv8ABC_dims24hipblaslt_initializationbPT_mmmmmEUlmE3_EvS4_mmT0_.has_indirect_call, 0
	.section	.AMDGPU.csdata,"",@progbits
; Kernel info:
; codeLenInByte = 2744
; TotalNumSgprs: 26
; NumVgprs: 34
; ScratchSize: 0
; MemoryBound: 0
; FloatMode: 240
; IeeeMode: 1
; LDSByteSize: 0 bytes/workgroup (compile time only)
; SGPRBlocks: 0
; VGPRBlocks: 2
; NumSGPRsForWavesPerEU: 26
; NumVGPRsForWavesPerEU: 34
; NamedBarCnt: 0
; Occupancy: 16
; WaveLimiterHint : 0
; COMPUTE_PGM_RSRC2:SCRATCH_EN: 0
; COMPUTE_PGM_RSRC2:USER_SGPR: 2
; COMPUTE_PGM_RSRC2:TRAP_HANDLER: 0
; COMPUTE_PGM_RSRC2:TGID_X_EN: 1
; COMPUTE_PGM_RSRC2:TGID_Y_EN: 0
; COMPUTE_PGM_RSRC2:TGID_Z_EN: 0
; COMPUTE_PGM_RSRC2:TIDIG_COMP_CNT: 0
	.section	.text._Z11fill_kernelIdZ21hipblaslt_init_deviceIdEv8ABC_dims24hipblaslt_initializationbPT_mmmmmEUlmE4_EvS4_mmT0_,"axG",@progbits,_Z11fill_kernelIdZ21hipblaslt_init_deviceIdEv8ABC_dims24hipblaslt_initializationbPT_mmmmmEUlmE4_EvS4_mmT0_,comdat
	.protected	_Z11fill_kernelIdZ21hipblaslt_init_deviceIdEv8ABC_dims24hipblaslt_initializationbPT_mmmmmEUlmE4_EvS4_mmT0_ ; -- Begin function _Z11fill_kernelIdZ21hipblaslt_init_deviceIdEv8ABC_dims24hipblaslt_initializationbPT_mmmmmEUlmE4_EvS4_mmT0_
	.globl	_Z11fill_kernelIdZ21hipblaslt_init_deviceIdEv8ABC_dims24hipblaslt_initializationbPT_mmmmmEUlmE4_EvS4_mmT0_
	.p2align	8
	.type	_Z11fill_kernelIdZ21hipblaslt_init_deviceIdEv8ABC_dims24hipblaslt_initializationbPT_mmmmmEUlmE4_EvS4_mmT0_,@function
_Z11fill_kernelIdZ21hipblaslt_init_deviceIdEv8ABC_dims24hipblaslt_initializationbPT_mmmmmEUlmE4_EvS4_mmT0_: ; @_Z11fill_kernelIdZ21hipblaslt_init_deviceIdEv8ABC_dims24hipblaslt_initializationbPT_mmmmmEUlmE4_EvS4_mmT0_
; %bb.0:
	s_clause 0x1
	s_load_b32 s2, s[0:1], 0x2c
	s_load_b128 s[4:7], s[0:1], 0x0
	s_bfe_u32 s3, ttmp6, 0x4000c
	s_and_b32 s8, ttmp6, 15
	s_add_co_i32 s3, s3, 1
	s_getreg_b32 s9, hwreg(HW_REG_IB_STS2, 6, 4)
	s_mul_i32 s3, ttmp9, s3
	v_mov_b32_e32 v1, 0
	s_add_co_i32 s8, s8, s3
	s_wait_kmcnt 0x0
	s_and_b32 s2, s2, 0xffff
	s_cmp_eq_u32 s9, 0
	s_cselect_b32 s3, ttmp9, s8
	s_delay_alu instid0(SALU_CYCLE_1) | instskip(SKIP_1) | instid1(VALU_DEP_1)
	v_mad_u32 v0, s3, s2, v0
	s_mov_b32 s2, exec_lo
	v_cmpx_gt_u64_e64 s[6:7], v[0:1]
	s_cbranch_execz .LBB16_2
; %bb.1:
	s_load_b64 s[0:1], s[0:1], 0x10
	s_wait_kmcnt 0x0
	v_add_nc_u64_e32 v[0:1], s[0:1], v[0:1]
	s_mov_b32 s0, 0x19660d
	s_delay_alu instid0(VALU_DEP_1) | instid1(SALU_CYCLE_1)
	v_mad_nc_u64_u32 v[2:3], v0, s0, 0x3c6ef35f
	s_mov_b64 s[0:1], 0x41efffffffe00000
	s_delay_alu instid0(VALU_DEP_1) | instskip(SKIP_1) | instid1(VALU_DEP_2)
	v_mad_u32 v3, 0x19660d, v1, v3
	v_lshl_add_u64 v[0:1], v[0:1], 3, s[4:5]
	v_lshlrev_b64_e32 v[4:5], 13, v[2:3]
	s_delay_alu instid0(VALU_DEP_1) | instskip(NEXT) | instid1(VALU_DEP_2)
	v_xor_b32_e32 v3, v5, v3
	v_xor_b32_e32 v2, v4, v2
	s_delay_alu instid0(VALU_DEP_1) | instskip(NEXT) | instid1(VALU_DEP_1)
	v_lshrrev_b64 v[4:5], 17, v[2:3]
	v_xor_b32_e32 v3, v5, v3
	s_delay_alu instid0(VALU_DEP_2) | instskip(NEXT) | instid1(VALU_DEP_1)
	v_xor_b32_e32 v2, v4, v2
	v_lshlrev_b64_e32 v[4:5], 5, v[2:3]
	s_delay_alu instid0(VALU_DEP_1) | instskip(NEXT) | instid1(VALU_DEP_2)
	v_xor_b32_e32 v3, v5, v3
	v_xor_b32_e32 v2, v4, v2
	s_delay_alu instid0(VALU_DEP_1) | instskip(NEXT) | instid1(VALU_DEP_1)
	v_lshlrev_b64_e32 v[4:5], 13, v[2:3]
	v_xor_b32_e32 v3, v5, v3
	s_delay_alu instid0(VALU_DEP_2) | instskip(NEXT) | instid1(VALU_DEP_1)
	v_xor_b32_e32 v2, v4, v2
	v_lshrrev_b64 v[4:5], 17, v[2:3]
	s_delay_alu instid0(VALU_DEP_1) | instskip(NEXT) | instid1(VALU_DEP_2)
	v_xor_b32_e32 v3, v5, v3
	v_xor_b32_e32 v2, v4, v2
	s_delay_alu instid0(VALU_DEP_1) | instskip(NEXT) | instid1(VALU_DEP_1)
	v_lshlrev_b64_e32 v[4:5], 5, v[2:3]
	v_xor_b32_e32 v3, v5, v3
	s_delay_alu instid0(VALU_DEP_2) | instskip(NEXT) | instid1(VALU_DEP_1)
	v_xor_b32_e32 v2, v4, v2
	v_lshlrev_b64_e32 v[4:5], 13, v[2:3]
	s_delay_alu instid0(VALU_DEP_1) | instskip(NEXT) | instid1(VALU_DEP_2)
	v_xor_b32_e32 v3, v5, v3
	v_xor_b32_e32 v2, v4, v2
	s_delay_alu instid0(VALU_DEP_1) | instskip(NEXT) | instid1(VALU_DEP_1)
	v_alignbit_b32 v3, v3, v2, 17
	v_xor_b32_e32 v2, v3, v2
	s_delay_alu instid0(VALU_DEP_1) | instskip(NEXT) | instid1(VALU_DEP_1)
	v_lshlrev_b32_e32 v3, 5, v2
	v_xor_b32_e32 v2, v3, v2
	s_delay_alu instid0(VALU_DEP_1) | instskip(NEXT) | instid1(VALU_DEP_1)
	v_cvt_f64_u32_e32 v[2:3], v2
	v_div_scale_f64 v[4:5], null, s[0:1], s[0:1], v[2:3]
	s_delay_alu instid0(VALU_DEP_1) | instskip(SKIP_1) | instid1(TRANS32_DEP_1)
	v_rcp_f64_e32 v[6:7], v[4:5]
	v_nop
	v_fma_f64 v[8:9], -v[4:5], v[6:7], 1.0
	s_delay_alu instid0(VALU_DEP_1) | instskip(NEXT) | instid1(VALU_DEP_1)
	v_fmac_f64_e32 v[6:7], v[6:7], v[8:9]
	v_fma_f64 v[8:9], -v[4:5], v[6:7], 1.0
	s_delay_alu instid0(VALU_DEP_1) | instskip(SKIP_1) | instid1(VALU_DEP_1)
	v_fmac_f64_e32 v[6:7], v[6:7], v[8:9]
	v_div_scale_f64 v[8:9], vcc_lo, v[2:3], s[0:1], v[2:3]
	v_mul_f64_e32 v[10:11], v[8:9], v[6:7]
	s_delay_alu instid0(VALU_DEP_1) | instskip(NEXT) | instid1(VALU_DEP_1)
	v_fma_f64 v[4:5], -v[4:5], v[10:11], v[8:9]
	v_div_fmas_f64 v[4:5], v[4:5], v[6:7], v[10:11]
	s_delay_alu instid0(VALU_DEP_1) | instskip(NEXT) | instid1(VALU_DEP_1)
	v_div_fixup_f64 v[2:3], v[4:5], s[0:1], v[2:3]
	v_add_f64_e32 v[2:3], -0.5, v[2:3]
	global_store_b64 v[0:1], v[2:3], off
.LBB16_2:
	s_endpgm
	.section	.rodata,"a",@progbits
	.p2align	6, 0x0
	.amdhsa_kernel _Z11fill_kernelIdZ21hipblaslt_init_deviceIdEv8ABC_dims24hipblaslt_initializationbPT_mmmmmEUlmE4_EvS4_mmT0_
		.amdhsa_group_segment_fixed_size 0
		.amdhsa_private_segment_fixed_size 0
		.amdhsa_kernarg_size 288
		.amdhsa_user_sgpr_count 2
		.amdhsa_user_sgpr_dispatch_ptr 0
		.amdhsa_user_sgpr_queue_ptr 0
		.amdhsa_user_sgpr_kernarg_segment_ptr 1
		.amdhsa_user_sgpr_dispatch_id 0
		.amdhsa_user_sgpr_kernarg_preload_length 0
		.amdhsa_user_sgpr_kernarg_preload_offset 0
		.amdhsa_user_sgpr_private_segment_size 0
		.amdhsa_wavefront_size32 1
		.amdhsa_uses_dynamic_stack 0
		.amdhsa_enable_private_segment 0
		.amdhsa_system_sgpr_workgroup_id_x 1
		.amdhsa_system_sgpr_workgroup_id_y 0
		.amdhsa_system_sgpr_workgroup_id_z 0
		.amdhsa_system_sgpr_workgroup_info 0
		.amdhsa_system_vgpr_workitem_id 0
		.amdhsa_next_free_vgpr 12
		.amdhsa_next_free_sgpr 10
		.amdhsa_named_barrier_count 0
		.amdhsa_reserve_vcc 1
		.amdhsa_float_round_mode_32 0
		.amdhsa_float_round_mode_16_64 0
		.amdhsa_float_denorm_mode_32 3
		.amdhsa_float_denorm_mode_16_64 3
		.amdhsa_fp16_overflow 0
		.amdhsa_memory_ordered 1
		.amdhsa_forward_progress 1
		.amdhsa_inst_pref_size 4
		.amdhsa_round_robin_scheduling 0
		.amdhsa_exception_fp_ieee_invalid_op 0
		.amdhsa_exception_fp_denorm_src 0
		.amdhsa_exception_fp_ieee_div_zero 0
		.amdhsa_exception_fp_ieee_overflow 0
		.amdhsa_exception_fp_ieee_underflow 0
		.amdhsa_exception_fp_ieee_inexact 0
		.amdhsa_exception_int_div_zero 0
	.end_amdhsa_kernel
	.section	.text._Z11fill_kernelIdZ21hipblaslt_init_deviceIdEv8ABC_dims24hipblaslt_initializationbPT_mmmmmEUlmE4_EvS4_mmT0_,"axG",@progbits,_Z11fill_kernelIdZ21hipblaslt_init_deviceIdEv8ABC_dims24hipblaslt_initializationbPT_mmmmmEUlmE4_EvS4_mmT0_,comdat
.Lfunc_end16:
	.size	_Z11fill_kernelIdZ21hipblaslt_init_deviceIdEv8ABC_dims24hipblaslt_initializationbPT_mmmmmEUlmE4_EvS4_mmT0_, .Lfunc_end16-_Z11fill_kernelIdZ21hipblaslt_init_deviceIdEv8ABC_dims24hipblaslt_initializationbPT_mmmmmEUlmE4_EvS4_mmT0_
                                        ; -- End function
	.set _Z11fill_kernelIdZ21hipblaslt_init_deviceIdEv8ABC_dims24hipblaslt_initializationbPT_mmmmmEUlmE4_EvS4_mmT0_.num_vgpr, 12
	.set _Z11fill_kernelIdZ21hipblaslt_init_deviceIdEv8ABC_dims24hipblaslt_initializationbPT_mmmmmEUlmE4_EvS4_mmT0_.num_agpr, 0
	.set _Z11fill_kernelIdZ21hipblaslt_init_deviceIdEv8ABC_dims24hipblaslt_initializationbPT_mmmmmEUlmE4_EvS4_mmT0_.numbered_sgpr, 10
	.set _Z11fill_kernelIdZ21hipblaslt_init_deviceIdEv8ABC_dims24hipblaslt_initializationbPT_mmmmmEUlmE4_EvS4_mmT0_.num_named_barrier, 0
	.set _Z11fill_kernelIdZ21hipblaslt_init_deviceIdEv8ABC_dims24hipblaslt_initializationbPT_mmmmmEUlmE4_EvS4_mmT0_.private_seg_size, 0
	.set _Z11fill_kernelIdZ21hipblaslt_init_deviceIdEv8ABC_dims24hipblaslt_initializationbPT_mmmmmEUlmE4_EvS4_mmT0_.uses_vcc, 1
	.set _Z11fill_kernelIdZ21hipblaslt_init_deviceIdEv8ABC_dims24hipblaslt_initializationbPT_mmmmmEUlmE4_EvS4_mmT0_.uses_flat_scratch, 0
	.set _Z11fill_kernelIdZ21hipblaslt_init_deviceIdEv8ABC_dims24hipblaslt_initializationbPT_mmmmmEUlmE4_EvS4_mmT0_.has_dyn_sized_stack, 0
	.set _Z11fill_kernelIdZ21hipblaslt_init_deviceIdEv8ABC_dims24hipblaslt_initializationbPT_mmmmmEUlmE4_EvS4_mmT0_.has_recursion, 0
	.set _Z11fill_kernelIdZ21hipblaslt_init_deviceIdEv8ABC_dims24hipblaslt_initializationbPT_mmmmmEUlmE4_EvS4_mmT0_.has_indirect_call, 0
	.section	.AMDGPU.csdata,"",@progbits
; Kernel info:
; codeLenInByte = 460
; TotalNumSgprs: 12
; NumVgprs: 12
; ScratchSize: 0
; MemoryBound: 0
; FloatMode: 240
; IeeeMode: 1
; LDSByteSize: 0 bytes/workgroup (compile time only)
; SGPRBlocks: 0
; VGPRBlocks: 0
; NumSGPRsForWavesPerEU: 12
; NumVGPRsForWavesPerEU: 12
; NamedBarCnt: 0
; Occupancy: 16
; WaveLimiterHint : 0
; COMPUTE_PGM_RSRC2:SCRATCH_EN: 0
; COMPUTE_PGM_RSRC2:USER_SGPR: 2
; COMPUTE_PGM_RSRC2:TRAP_HANDLER: 0
; COMPUTE_PGM_RSRC2:TGID_X_EN: 1
; COMPUTE_PGM_RSRC2:TGID_Y_EN: 0
; COMPUTE_PGM_RSRC2:TGID_Z_EN: 0
; COMPUTE_PGM_RSRC2:TIDIG_COMP_CNT: 0
	.section	.text._Z11fill_kernelIdZ21hipblaslt_init_deviceIdEv8ABC_dims24hipblaslt_initializationbPT_mmmmmEUlmE5_EvS4_mmT0_,"axG",@progbits,_Z11fill_kernelIdZ21hipblaslt_init_deviceIdEv8ABC_dims24hipblaslt_initializationbPT_mmmmmEUlmE5_EvS4_mmT0_,comdat
	.protected	_Z11fill_kernelIdZ21hipblaslt_init_deviceIdEv8ABC_dims24hipblaslt_initializationbPT_mmmmmEUlmE5_EvS4_mmT0_ ; -- Begin function _Z11fill_kernelIdZ21hipblaslt_init_deviceIdEv8ABC_dims24hipblaslt_initializationbPT_mmmmmEUlmE5_EvS4_mmT0_
	.globl	_Z11fill_kernelIdZ21hipblaslt_init_deviceIdEv8ABC_dims24hipblaslt_initializationbPT_mmmmmEUlmE5_EvS4_mmT0_
	.p2align	8
	.type	_Z11fill_kernelIdZ21hipblaslt_init_deviceIdEv8ABC_dims24hipblaslt_initializationbPT_mmmmmEUlmE5_EvS4_mmT0_,@function
_Z11fill_kernelIdZ21hipblaslt_init_deviceIdEv8ABC_dims24hipblaslt_initializationbPT_mmmmmEUlmE5_EvS4_mmT0_: ; @_Z11fill_kernelIdZ21hipblaslt_init_deviceIdEv8ABC_dims24hipblaslt_initializationbPT_mmmmmEUlmE5_EvS4_mmT0_
; %bb.0:
	s_clause 0x1
	s_load_b32 s2, s[0:1], 0x2c
	s_load_b128 s[4:7], s[0:1], 0x0
	s_bfe_u32 s3, ttmp6, 0x4000c
	s_and_b32 s8, ttmp6, 15
	s_add_co_i32 s3, s3, 1
	s_getreg_b32 s9, hwreg(HW_REG_IB_STS2, 6, 4)
	s_mul_i32 s3, ttmp9, s3
	v_mov_b32_e32 v1, 0
	s_add_co_i32 s8, s8, s3
	s_wait_kmcnt 0x0
	s_and_b32 s2, s2, 0xffff
	s_cmp_eq_u32 s9, 0
	s_cselect_b32 s3, ttmp9, s8
	s_delay_alu instid0(SALU_CYCLE_1) | instskip(SKIP_1) | instid1(VALU_DEP_1)
	v_mad_u32 v0, s3, s2, v0
	s_mov_b32 s2, exec_lo
	v_cmpx_gt_u64_e64 s[6:7], v[0:1]
	s_cbranch_execz .LBB17_2
; %bb.1:
	s_load_b64 s[0:1], s[0:1], 0x10
	v_mov_b64_e32 v[2:3], 0x40efe00000000000
	s_wait_kmcnt 0x0
	s_lshl_b64 s[0:1], s[0:1], 3
	s_delay_alu instid0(SALU_CYCLE_1) | instskip(NEXT) | instid1(SALU_CYCLE_1)
	s_add_nc_u64 s[0:1], s[4:5], s[0:1]
	v_lshl_add_u64 v[0:1], v[0:1], 3, s[0:1]
	global_store_b64 v[0:1], v[2:3], off
.LBB17_2:
	s_endpgm
	.section	.rodata,"a",@progbits
	.p2align	6, 0x0
	.amdhsa_kernel _Z11fill_kernelIdZ21hipblaslt_init_deviceIdEv8ABC_dims24hipblaslt_initializationbPT_mmmmmEUlmE5_EvS4_mmT0_
		.amdhsa_group_segment_fixed_size 0
		.amdhsa_private_segment_fixed_size 0
		.amdhsa_kernarg_size 288
		.amdhsa_user_sgpr_count 2
		.amdhsa_user_sgpr_dispatch_ptr 0
		.amdhsa_user_sgpr_queue_ptr 0
		.amdhsa_user_sgpr_kernarg_segment_ptr 1
		.amdhsa_user_sgpr_dispatch_id 0
		.amdhsa_user_sgpr_kernarg_preload_length 0
		.amdhsa_user_sgpr_kernarg_preload_offset 0
		.amdhsa_user_sgpr_private_segment_size 0
		.amdhsa_wavefront_size32 1
		.amdhsa_uses_dynamic_stack 0
		.amdhsa_enable_private_segment 0
		.amdhsa_system_sgpr_workgroup_id_x 1
		.amdhsa_system_sgpr_workgroup_id_y 0
		.amdhsa_system_sgpr_workgroup_id_z 0
		.amdhsa_system_sgpr_workgroup_info 0
		.amdhsa_system_vgpr_workitem_id 0
		.amdhsa_next_free_vgpr 4
		.amdhsa_next_free_sgpr 10
		.amdhsa_named_barrier_count 0
		.amdhsa_reserve_vcc 0
		.amdhsa_float_round_mode_32 0
		.amdhsa_float_round_mode_16_64 0
		.amdhsa_float_denorm_mode_32 3
		.amdhsa_float_denorm_mode_16_64 3
		.amdhsa_fp16_overflow 0
		.amdhsa_memory_ordered 1
		.amdhsa_forward_progress 1
		.amdhsa_inst_pref_size 2
		.amdhsa_round_robin_scheduling 0
		.amdhsa_exception_fp_ieee_invalid_op 0
		.amdhsa_exception_fp_denorm_src 0
		.amdhsa_exception_fp_ieee_div_zero 0
		.amdhsa_exception_fp_ieee_overflow 0
		.amdhsa_exception_fp_ieee_underflow 0
		.amdhsa_exception_fp_ieee_inexact 0
		.amdhsa_exception_int_div_zero 0
	.end_amdhsa_kernel
	.section	.text._Z11fill_kernelIdZ21hipblaslt_init_deviceIdEv8ABC_dims24hipblaslt_initializationbPT_mmmmmEUlmE5_EvS4_mmT0_,"axG",@progbits,_Z11fill_kernelIdZ21hipblaslt_init_deviceIdEv8ABC_dims24hipblaslt_initializationbPT_mmmmmEUlmE5_EvS4_mmT0_,comdat
.Lfunc_end17:
	.size	_Z11fill_kernelIdZ21hipblaslt_init_deviceIdEv8ABC_dims24hipblaslt_initializationbPT_mmmmmEUlmE5_EvS4_mmT0_, .Lfunc_end17-_Z11fill_kernelIdZ21hipblaslt_init_deviceIdEv8ABC_dims24hipblaslt_initializationbPT_mmmmmEUlmE5_EvS4_mmT0_
                                        ; -- End function
	.set _Z11fill_kernelIdZ21hipblaslt_init_deviceIdEv8ABC_dims24hipblaslt_initializationbPT_mmmmmEUlmE5_EvS4_mmT0_.num_vgpr, 4
	.set _Z11fill_kernelIdZ21hipblaslt_init_deviceIdEv8ABC_dims24hipblaslt_initializationbPT_mmmmmEUlmE5_EvS4_mmT0_.num_agpr, 0
	.set _Z11fill_kernelIdZ21hipblaslt_init_deviceIdEv8ABC_dims24hipblaslt_initializationbPT_mmmmmEUlmE5_EvS4_mmT0_.numbered_sgpr, 10
	.set _Z11fill_kernelIdZ21hipblaslt_init_deviceIdEv8ABC_dims24hipblaslt_initializationbPT_mmmmmEUlmE5_EvS4_mmT0_.num_named_barrier, 0
	.set _Z11fill_kernelIdZ21hipblaslt_init_deviceIdEv8ABC_dims24hipblaslt_initializationbPT_mmmmmEUlmE5_EvS4_mmT0_.private_seg_size, 0
	.set _Z11fill_kernelIdZ21hipblaslt_init_deviceIdEv8ABC_dims24hipblaslt_initializationbPT_mmmmmEUlmE5_EvS4_mmT0_.uses_vcc, 0
	.set _Z11fill_kernelIdZ21hipblaslt_init_deviceIdEv8ABC_dims24hipblaslt_initializationbPT_mmmmmEUlmE5_EvS4_mmT0_.uses_flat_scratch, 0
	.set _Z11fill_kernelIdZ21hipblaslt_init_deviceIdEv8ABC_dims24hipblaslt_initializationbPT_mmmmmEUlmE5_EvS4_mmT0_.has_dyn_sized_stack, 0
	.set _Z11fill_kernelIdZ21hipblaslt_init_deviceIdEv8ABC_dims24hipblaslt_initializationbPT_mmmmmEUlmE5_EvS4_mmT0_.has_recursion, 0
	.set _Z11fill_kernelIdZ21hipblaslt_init_deviceIdEv8ABC_dims24hipblaslt_initializationbPT_mmmmmEUlmE5_EvS4_mmT0_.has_indirect_call, 0
	.section	.AMDGPU.csdata,"",@progbits
; Kernel info:
; codeLenInByte = 160
; TotalNumSgprs: 10
; NumVgprs: 4
; ScratchSize: 0
; MemoryBound: 0
; FloatMode: 240
; IeeeMode: 1
; LDSByteSize: 0 bytes/workgroup (compile time only)
; SGPRBlocks: 0
; VGPRBlocks: 0
; NumSGPRsForWavesPerEU: 10
; NumVGPRsForWavesPerEU: 4
; NamedBarCnt: 0
; Occupancy: 16
; WaveLimiterHint : 0
; COMPUTE_PGM_RSRC2:SCRATCH_EN: 0
; COMPUTE_PGM_RSRC2:USER_SGPR: 2
; COMPUTE_PGM_RSRC2:TRAP_HANDLER: 0
; COMPUTE_PGM_RSRC2:TGID_X_EN: 1
; COMPUTE_PGM_RSRC2:TGID_Y_EN: 0
; COMPUTE_PGM_RSRC2:TGID_Z_EN: 0
; COMPUTE_PGM_RSRC2:TIDIG_COMP_CNT: 0
	.section	.text._Z11fill_kernelIdZ21hipblaslt_init_deviceIdEv8ABC_dims24hipblaslt_initializationbPT_mmmmmEUlmE6_EvS4_mmT0_,"axG",@progbits,_Z11fill_kernelIdZ21hipblaslt_init_deviceIdEv8ABC_dims24hipblaslt_initializationbPT_mmmmmEUlmE6_EvS4_mmT0_,comdat
	.protected	_Z11fill_kernelIdZ21hipblaslt_init_deviceIdEv8ABC_dims24hipblaslt_initializationbPT_mmmmmEUlmE6_EvS4_mmT0_ ; -- Begin function _Z11fill_kernelIdZ21hipblaslt_init_deviceIdEv8ABC_dims24hipblaslt_initializationbPT_mmmmmEUlmE6_EvS4_mmT0_
	.globl	_Z11fill_kernelIdZ21hipblaslt_init_deviceIdEv8ABC_dims24hipblaslt_initializationbPT_mmmmmEUlmE6_EvS4_mmT0_
	.p2align	8
	.type	_Z11fill_kernelIdZ21hipblaslt_init_deviceIdEv8ABC_dims24hipblaslt_initializationbPT_mmmmmEUlmE6_EvS4_mmT0_,@function
_Z11fill_kernelIdZ21hipblaslt_init_deviceIdEv8ABC_dims24hipblaslt_initializationbPT_mmmmmEUlmE6_EvS4_mmT0_: ; @_Z11fill_kernelIdZ21hipblaslt_init_deviceIdEv8ABC_dims24hipblaslt_initializationbPT_mmmmmEUlmE6_EvS4_mmT0_
; %bb.0:
	s_clause 0x1
	s_load_b32 s2, s[0:1], 0x2c
	s_load_b128 s[4:7], s[0:1], 0x0
	s_bfe_u32 s3, ttmp6, 0x4000c
	s_and_b32 s8, ttmp6, 15
	s_add_co_i32 s3, s3, 1
	s_getreg_b32 s9, hwreg(HW_REG_IB_STS2, 6, 4)
	s_mul_i32 s3, ttmp9, s3
	v_mov_b32_e32 v1, 0
	s_add_co_i32 s8, s8, s3
	s_wait_kmcnt 0x0
	s_and_b32 s2, s2, 0xffff
	s_cmp_eq_u32 s9, 0
	s_cselect_b32 s3, ttmp9, s8
	s_delay_alu instid0(SALU_CYCLE_1) | instskip(SKIP_1) | instid1(VALU_DEP_1)
	v_mad_u32 v0, s3, s2, v0
	s_mov_b32 s2, exec_lo
	v_cmpx_gt_u64_e64 s[6:7], v[0:1]
	s_cbranch_execz .LBB18_2
; %bb.1:
	s_load_b64 s[0:1], s[0:1], 0x10
	v_mov_b64_e32 v[2:3], 0x3f0fe00000000000
	s_wait_kmcnt 0x0
	s_lshl_b64 s[0:1], s[0:1], 3
	s_delay_alu instid0(SALU_CYCLE_1) | instskip(NEXT) | instid1(SALU_CYCLE_1)
	s_add_nc_u64 s[0:1], s[4:5], s[0:1]
	v_lshl_add_u64 v[0:1], v[0:1], 3, s[0:1]
	global_store_b64 v[0:1], v[2:3], off
.LBB18_2:
	s_endpgm
	.section	.rodata,"a",@progbits
	.p2align	6, 0x0
	.amdhsa_kernel _Z11fill_kernelIdZ21hipblaslt_init_deviceIdEv8ABC_dims24hipblaslt_initializationbPT_mmmmmEUlmE6_EvS4_mmT0_
		.amdhsa_group_segment_fixed_size 0
		.amdhsa_private_segment_fixed_size 0
		.amdhsa_kernarg_size 288
		.amdhsa_user_sgpr_count 2
		.amdhsa_user_sgpr_dispatch_ptr 0
		.amdhsa_user_sgpr_queue_ptr 0
		.amdhsa_user_sgpr_kernarg_segment_ptr 1
		.amdhsa_user_sgpr_dispatch_id 0
		.amdhsa_user_sgpr_kernarg_preload_length 0
		.amdhsa_user_sgpr_kernarg_preload_offset 0
		.amdhsa_user_sgpr_private_segment_size 0
		.amdhsa_wavefront_size32 1
		.amdhsa_uses_dynamic_stack 0
		.amdhsa_enable_private_segment 0
		.amdhsa_system_sgpr_workgroup_id_x 1
		.amdhsa_system_sgpr_workgroup_id_y 0
		.amdhsa_system_sgpr_workgroup_id_z 0
		.amdhsa_system_sgpr_workgroup_info 0
		.amdhsa_system_vgpr_workitem_id 0
		.amdhsa_next_free_vgpr 4
		.amdhsa_next_free_sgpr 10
		.amdhsa_named_barrier_count 0
		.amdhsa_reserve_vcc 0
		.amdhsa_float_round_mode_32 0
		.amdhsa_float_round_mode_16_64 0
		.amdhsa_float_denorm_mode_32 3
		.amdhsa_float_denorm_mode_16_64 3
		.amdhsa_fp16_overflow 0
		.amdhsa_memory_ordered 1
		.amdhsa_forward_progress 1
		.amdhsa_inst_pref_size 2
		.amdhsa_round_robin_scheduling 0
		.amdhsa_exception_fp_ieee_invalid_op 0
		.amdhsa_exception_fp_denorm_src 0
		.amdhsa_exception_fp_ieee_div_zero 0
		.amdhsa_exception_fp_ieee_overflow 0
		.amdhsa_exception_fp_ieee_underflow 0
		.amdhsa_exception_fp_ieee_inexact 0
		.amdhsa_exception_int_div_zero 0
	.end_amdhsa_kernel
	.section	.text._Z11fill_kernelIdZ21hipblaslt_init_deviceIdEv8ABC_dims24hipblaslt_initializationbPT_mmmmmEUlmE6_EvS4_mmT0_,"axG",@progbits,_Z11fill_kernelIdZ21hipblaslt_init_deviceIdEv8ABC_dims24hipblaslt_initializationbPT_mmmmmEUlmE6_EvS4_mmT0_,comdat
.Lfunc_end18:
	.size	_Z11fill_kernelIdZ21hipblaslt_init_deviceIdEv8ABC_dims24hipblaslt_initializationbPT_mmmmmEUlmE6_EvS4_mmT0_, .Lfunc_end18-_Z11fill_kernelIdZ21hipblaslt_init_deviceIdEv8ABC_dims24hipblaslt_initializationbPT_mmmmmEUlmE6_EvS4_mmT0_
                                        ; -- End function
	.set _Z11fill_kernelIdZ21hipblaslt_init_deviceIdEv8ABC_dims24hipblaslt_initializationbPT_mmmmmEUlmE6_EvS4_mmT0_.num_vgpr, 4
	.set _Z11fill_kernelIdZ21hipblaslt_init_deviceIdEv8ABC_dims24hipblaslt_initializationbPT_mmmmmEUlmE6_EvS4_mmT0_.num_agpr, 0
	.set _Z11fill_kernelIdZ21hipblaslt_init_deviceIdEv8ABC_dims24hipblaslt_initializationbPT_mmmmmEUlmE6_EvS4_mmT0_.numbered_sgpr, 10
	.set _Z11fill_kernelIdZ21hipblaslt_init_deviceIdEv8ABC_dims24hipblaslt_initializationbPT_mmmmmEUlmE6_EvS4_mmT0_.num_named_barrier, 0
	.set _Z11fill_kernelIdZ21hipblaslt_init_deviceIdEv8ABC_dims24hipblaslt_initializationbPT_mmmmmEUlmE6_EvS4_mmT0_.private_seg_size, 0
	.set _Z11fill_kernelIdZ21hipblaslt_init_deviceIdEv8ABC_dims24hipblaslt_initializationbPT_mmmmmEUlmE6_EvS4_mmT0_.uses_vcc, 0
	.set _Z11fill_kernelIdZ21hipblaslt_init_deviceIdEv8ABC_dims24hipblaslt_initializationbPT_mmmmmEUlmE6_EvS4_mmT0_.uses_flat_scratch, 0
	.set _Z11fill_kernelIdZ21hipblaslt_init_deviceIdEv8ABC_dims24hipblaslt_initializationbPT_mmmmmEUlmE6_EvS4_mmT0_.has_dyn_sized_stack, 0
	.set _Z11fill_kernelIdZ21hipblaslt_init_deviceIdEv8ABC_dims24hipblaslt_initializationbPT_mmmmmEUlmE6_EvS4_mmT0_.has_recursion, 0
	.set _Z11fill_kernelIdZ21hipblaslt_init_deviceIdEv8ABC_dims24hipblaslt_initializationbPT_mmmmmEUlmE6_EvS4_mmT0_.has_indirect_call, 0
	.section	.AMDGPU.csdata,"",@progbits
; Kernel info:
; codeLenInByte = 160
; TotalNumSgprs: 10
; NumVgprs: 4
; ScratchSize: 0
; MemoryBound: 0
; FloatMode: 240
; IeeeMode: 1
; LDSByteSize: 0 bytes/workgroup (compile time only)
; SGPRBlocks: 0
; VGPRBlocks: 0
; NumSGPRsForWavesPerEU: 10
; NumVGPRsForWavesPerEU: 4
; NamedBarCnt: 0
; Occupancy: 16
; WaveLimiterHint : 0
; COMPUTE_PGM_RSRC2:SCRATCH_EN: 0
; COMPUTE_PGM_RSRC2:USER_SGPR: 2
; COMPUTE_PGM_RSRC2:TRAP_HANDLER: 0
; COMPUTE_PGM_RSRC2:TGID_X_EN: 1
; COMPUTE_PGM_RSRC2:TGID_Y_EN: 0
; COMPUTE_PGM_RSRC2:TGID_Z_EN: 0
; COMPUTE_PGM_RSRC2:TIDIG_COMP_CNT: 0
	.section	.text._Z11fill_kernelIdZ21hipblaslt_init_deviceIdEv8ABC_dims24hipblaslt_initializationbPT_mmmmmEUlmE7_EvS4_mmT0_,"axG",@progbits,_Z11fill_kernelIdZ21hipblaslt_init_deviceIdEv8ABC_dims24hipblaslt_initializationbPT_mmmmmEUlmE7_EvS4_mmT0_,comdat
	.protected	_Z11fill_kernelIdZ21hipblaslt_init_deviceIdEv8ABC_dims24hipblaslt_initializationbPT_mmmmmEUlmE7_EvS4_mmT0_ ; -- Begin function _Z11fill_kernelIdZ21hipblaslt_init_deviceIdEv8ABC_dims24hipblaslt_initializationbPT_mmmmmEUlmE7_EvS4_mmT0_
	.globl	_Z11fill_kernelIdZ21hipblaslt_init_deviceIdEv8ABC_dims24hipblaslt_initializationbPT_mmmmmEUlmE7_EvS4_mmT0_
	.p2align	8
	.type	_Z11fill_kernelIdZ21hipblaslt_init_deviceIdEv8ABC_dims24hipblaslt_initializationbPT_mmmmmEUlmE7_EvS4_mmT0_,@function
_Z11fill_kernelIdZ21hipblaslt_init_deviceIdEv8ABC_dims24hipblaslt_initializationbPT_mmmmmEUlmE7_EvS4_mmT0_: ; @_Z11fill_kernelIdZ21hipblaslt_init_deviceIdEv8ABC_dims24hipblaslt_initializationbPT_mmmmmEUlmE7_EvS4_mmT0_
; %bb.0:
	s_clause 0x1
	s_load_b32 s2, s[0:1], 0x2c
	s_load_b128 s[4:7], s[0:1], 0x0
	s_bfe_u32 s3, ttmp6, 0x4000c
	s_and_b32 s8, ttmp6, 15
	s_add_co_i32 s3, s3, 1
	s_getreg_b32 s9, hwreg(HW_REG_IB_STS2, 6, 4)
	s_mul_i32 s3, ttmp9, s3
	v_mov_b32_e32 v1, 0
	s_add_co_i32 s8, s8, s3
	s_wait_kmcnt 0x0
	s_and_b32 s2, s2, 0xffff
	s_cmp_eq_u32 s9, 0
	s_cselect_b32 s3, ttmp9, s8
	s_delay_alu instid0(SALU_CYCLE_1) | instskip(SKIP_1) | instid1(VALU_DEP_1)
	v_mad_u32 v0, s3, s2, v0
	s_mov_b32 s2, exec_lo
	v_cmpx_gt_u64_e64 s[6:7], v[0:1]
	s_cbranch_execz .LBB19_2
; %bb.1:
	s_load_b64 s[0:1], s[0:1], 0x10
	s_wait_kmcnt 0x0
	v_add_nc_u64_e32 v[0:1], s[0:1], v[0:1]
	s_mov_b32 s0, 0x19660d
	s_delay_alu instid0(VALU_DEP_1) | instid1(SALU_CYCLE_1)
	v_mad_nc_u64_u32 v[2:3], v0, s0, 0x3c6ef35f
	s_delay_alu instid0(VALU_DEP_1) | instskip(SKIP_1) | instid1(VALU_DEP_2)
	v_mad_u32 v3, 0x19660d, v1, v3
	v_lshl_add_u64 v[0:1], v[0:1], 3, s[4:5]
	v_lshlrev_b64_e32 v[4:5], 13, v[2:3]
	s_delay_alu instid0(VALU_DEP_1) | instskip(NEXT) | instid1(VALU_DEP_2)
	v_xor_b32_e32 v3, v5, v3
	v_xor_b32_e32 v2, v4, v2
	s_delay_alu instid0(VALU_DEP_1) | instskip(NEXT) | instid1(VALU_DEP_1)
	v_lshrrev_b64 v[4:5], 17, v[2:3]
	v_xor_b32_e32 v3, v5, v3
	s_delay_alu instid0(VALU_DEP_2) | instskip(NEXT) | instid1(VALU_DEP_1)
	v_xor_b32_e32 v2, v4, v2
	v_lshlrev_b64_e32 v[4:5], 5, v[2:3]
	s_delay_alu instid0(VALU_DEP_1) | instskip(NEXT) | instid1(VALU_DEP_2)
	v_xor_b32_e32 v3, v5, v3
	v_xor_b32_e32 v2, v4, v2
	s_delay_alu instid0(VALU_DEP_1) | instskip(NEXT) | instid1(VALU_DEP_1)
	v_lshlrev_b64_e32 v[4:5], 13, v[2:3]
	v_xor_b32_e32 v3, v5, v3
	s_delay_alu instid0(VALU_DEP_2) | instskip(NEXT) | instid1(VALU_DEP_1)
	v_xor_b32_e32 v2, v4, v2
	v_lshrrev_b64 v[4:5], 17, v[2:3]
	s_delay_alu instid0(VALU_DEP_1) | instskip(NEXT) | instid1(VALU_DEP_2)
	v_xor_b32_e32 v3, v5, v3
	v_xor_b32_e32 v2, v4, v2
	s_delay_alu instid0(VALU_DEP_1) | instskip(NEXT) | instid1(VALU_DEP_1)
	v_lshlrev_b64_e32 v[4:5], 5, v[2:3]
	v_xor_b32_e32 v3, v5, v3
	s_delay_alu instid0(VALU_DEP_2) | instskip(NEXT) | instid1(VALU_DEP_1)
	v_xor_b32_e32 v2, v4, v2
	v_lshlrev_b64_e32 v[4:5], 13, v[2:3]
	s_delay_alu instid0(VALU_DEP_1) | instskip(NEXT) | instid1(VALU_DEP_2)
	v_xor_b32_e32 v3, v5, v3
	v_xor_b32_e32 v2, v4, v2
	s_delay_alu instid0(VALU_DEP_1) | instskip(NEXT) | instid1(VALU_DEP_1)
	v_alignbit_b32 v3, v3, v2, 17
	v_xor_b32_e32 v2, v3, v2
	s_delay_alu instid0(VALU_DEP_1) | instskip(NEXT) | instid1(VALU_DEP_1)
	v_lshlrev_b32_e32 v3, 5, v2
	v_xor_b32_e32 v2, v3, v2
	s_delay_alu instid0(VALU_DEP_1) | instskip(NEXT) | instid1(VALU_DEP_1)
	v_mul_hi_u32 v3, 0xcccccccd, v2
	v_lshrrev_b32_e32 v3, 3, v3
	s_delay_alu instid0(VALU_DEP_1) | instskip(NEXT) | instid1(VALU_DEP_1)
	v_mul_lo_u32 v3, v3, 10
	v_sub_nc_u32_e32 v2, v2, v3
	s_delay_alu instid0(VALU_DEP_1) | instskip(NEXT) | instid1(VALU_DEP_1)
	v_add_nc_u32_e32 v2, 1, v2
	v_cvt_f64_u32_e32 v[2:3], v2
	global_store_b64 v[0:1], v[2:3], off
.LBB19_2:
	s_endpgm
	.section	.rodata,"a",@progbits
	.p2align	6, 0x0
	.amdhsa_kernel _Z11fill_kernelIdZ21hipblaslt_init_deviceIdEv8ABC_dims24hipblaslt_initializationbPT_mmmmmEUlmE7_EvS4_mmT0_
		.amdhsa_group_segment_fixed_size 0
		.amdhsa_private_segment_fixed_size 0
		.amdhsa_kernarg_size 288
		.amdhsa_user_sgpr_count 2
		.amdhsa_user_sgpr_dispatch_ptr 0
		.amdhsa_user_sgpr_queue_ptr 0
		.amdhsa_user_sgpr_kernarg_segment_ptr 1
		.amdhsa_user_sgpr_dispatch_id 0
		.amdhsa_user_sgpr_kernarg_preload_length 0
		.amdhsa_user_sgpr_kernarg_preload_offset 0
		.amdhsa_user_sgpr_private_segment_size 0
		.amdhsa_wavefront_size32 1
		.amdhsa_uses_dynamic_stack 0
		.amdhsa_enable_private_segment 0
		.amdhsa_system_sgpr_workgroup_id_x 1
		.amdhsa_system_sgpr_workgroup_id_y 0
		.amdhsa_system_sgpr_workgroup_id_z 0
		.amdhsa_system_sgpr_workgroup_info 0
		.amdhsa_system_vgpr_workitem_id 0
		.amdhsa_next_free_vgpr 6
		.amdhsa_next_free_sgpr 10
		.amdhsa_named_barrier_count 0
		.amdhsa_reserve_vcc 0
		.amdhsa_float_round_mode_32 0
		.amdhsa_float_round_mode_16_64 0
		.amdhsa_float_denorm_mode_32 3
		.amdhsa_float_denorm_mode_16_64 3
		.amdhsa_fp16_overflow 0
		.amdhsa_memory_ordered 1
		.amdhsa_forward_progress 1
		.amdhsa_inst_pref_size 4
		.amdhsa_round_robin_scheduling 0
		.amdhsa_exception_fp_ieee_invalid_op 0
		.amdhsa_exception_fp_denorm_src 0
		.amdhsa_exception_fp_ieee_div_zero 0
		.amdhsa_exception_fp_ieee_overflow 0
		.amdhsa_exception_fp_ieee_underflow 0
		.amdhsa_exception_fp_ieee_inexact 0
		.amdhsa_exception_int_div_zero 0
	.end_amdhsa_kernel
	.section	.text._Z11fill_kernelIdZ21hipblaslt_init_deviceIdEv8ABC_dims24hipblaslt_initializationbPT_mmmmmEUlmE7_EvS4_mmT0_,"axG",@progbits,_Z11fill_kernelIdZ21hipblaslt_init_deviceIdEv8ABC_dims24hipblaslt_initializationbPT_mmmmmEUlmE7_EvS4_mmT0_,comdat
.Lfunc_end19:
	.size	_Z11fill_kernelIdZ21hipblaslt_init_deviceIdEv8ABC_dims24hipblaslt_initializationbPT_mmmmmEUlmE7_EvS4_mmT0_, .Lfunc_end19-_Z11fill_kernelIdZ21hipblaslt_init_deviceIdEv8ABC_dims24hipblaslt_initializationbPT_mmmmmEUlmE7_EvS4_mmT0_
                                        ; -- End function
	.set _Z11fill_kernelIdZ21hipblaslt_init_deviceIdEv8ABC_dims24hipblaslt_initializationbPT_mmmmmEUlmE7_EvS4_mmT0_.num_vgpr, 6
	.set _Z11fill_kernelIdZ21hipblaslt_init_deviceIdEv8ABC_dims24hipblaslt_initializationbPT_mmmmmEUlmE7_EvS4_mmT0_.num_agpr, 0
	.set _Z11fill_kernelIdZ21hipblaslt_init_deviceIdEv8ABC_dims24hipblaslt_initializationbPT_mmmmmEUlmE7_EvS4_mmT0_.numbered_sgpr, 10
	.set _Z11fill_kernelIdZ21hipblaslt_init_deviceIdEv8ABC_dims24hipblaslt_initializationbPT_mmmmmEUlmE7_EvS4_mmT0_.num_named_barrier, 0
	.set _Z11fill_kernelIdZ21hipblaslt_init_deviceIdEv8ABC_dims24hipblaslt_initializationbPT_mmmmmEUlmE7_EvS4_mmT0_.private_seg_size, 0
	.set _Z11fill_kernelIdZ21hipblaslt_init_deviceIdEv8ABC_dims24hipblaslt_initializationbPT_mmmmmEUlmE7_EvS4_mmT0_.uses_vcc, 0
	.set _Z11fill_kernelIdZ21hipblaslt_init_deviceIdEv8ABC_dims24hipblaslt_initializationbPT_mmmmmEUlmE7_EvS4_mmT0_.uses_flat_scratch, 0
	.set _Z11fill_kernelIdZ21hipblaslt_init_deviceIdEv8ABC_dims24hipblaslt_initializationbPT_mmmmmEUlmE7_EvS4_mmT0_.has_dyn_sized_stack, 0
	.set _Z11fill_kernelIdZ21hipblaslt_init_deviceIdEv8ABC_dims24hipblaslt_initializationbPT_mmmmmEUlmE7_EvS4_mmT0_.has_recursion, 0
	.set _Z11fill_kernelIdZ21hipblaslt_init_deviceIdEv8ABC_dims24hipblaslt_initializationbPT_mmmmmEUlmE7_EvS4_mmT0_.has_indirect_call, 0
	.section	.AMDGPU.csdata,"",@progbits
; Kernel info:
; codeLenInByte = 388
; TotalNumSgprs: 10
; NumVgprs: 6
; ScratchSize: 0
; MemoryBound: 0
; FloatMode: 240
; IeeeMode: 1
; LDSByteSize: 0 bytes/workgroup (compile time only)
; SGPRBlocks: 0
; VGPRBlocks: 0
; NumSGPRsForWavesPerEU: 10
; NumVGPRsForWavesPerEU: 6
; NamedBarCnt: 0
; Occupancy: 16
; WaveLimiterHint : 0
; COMPUTE_PGM_RSRC2:SCRATCH_EN: 0
; COMPUTE_PGM_RSRC2:USER_SGPR: 2
; COMPUTE_PGM_RSRC2:TRAP_HANDLER: 0
; COMPUTE_PGM_RSRC2:TGID_X_EN: 1
; COMPUTE_PGM_RSRC2:TGID_Y_EN: 0
; COMPUTE_PGM_RSRC2:TGID_Z_EN: 0
; COMPUTE_PGM_RSRC2:TIDIG_COMP_CNT: 0
	.section	.text._Z11fill_kernelIdZ21hipblaslt_init_deviceIdEv8ABC_dims24hipblaslt_initializationbPT_mmmmmEUlmE8_EvS4_mmT0_,"axG",@progbits,_Z11fill_kernelIdZ21hipblaslt_init_deviceIdEv8ABC_dims24hipblaslt_initializationbPT_mmmmmEUlmE8_EvS4_mmT0_,comdat
	.protected	_Z11fill_kernelIdZ21hipblaslt_init_deviceIdEv8ABC_dims24hipblaslt_initializationbPT_mmmmmEUlmE8_EvS4_mmT0_ ; -- Begin function _Z11fill_kernelIdZ21hipblaslt_init_deviceIdEv8ABC_dims24hipblaslt_initializationbPT_mmmmmEUlmE8_EvS4_mmT0_
	.globl	_Z11fill_kernelIdZ21hipblaslt_init_deviceIdEv8ABC_dims24hipblaslt_initializationbPT_mmmmmEUlmE8_EvS4_mmT0_
	.p2align	8
	.type	_Z11fill_kernelIdZ21hipblaslt_init_deviceIdEv8ABC_dims24hipblaslt_initializationbPT_mmmmmEUlmE8_EvS4_mmT0_,@function
_Z11fill_kernelIdZ21hipblaslt_init_deviceIdEv8ABC_dims24hipblaslt_initializationbPT_mmmmmEUlmE8_EvS4_mmT0_: ; @_Z11fill_kernelIdZ21hipblaslt_init_deviceIdEv8ABC_dims24hipblaslt_initializationbPT_mmmmmEUlmE8_EvS4_mmT0_
; %bb.0:
	s_clause 0x1
	s_load_b32 s2, s[0:1], 0x2c
	s_load_b128 s[4:7], s[0:1], 0x0
	s_bfe_u32 s3, ttmp6, 0x4000c
	s_and_b32 s8, ttmp6, 15
	s_add_co_i32 s3, s3, 1
	s_getreg_b32 s9, hwreg(HW_REG_IB_STS2, 6, 4)
	s_mul_i32 s3, ttmp9, s3
	v_mov_b32_e32 v1, 0
	s_add_co_i32 s8, s8, s3
	s_wait_kmcnt 0x0
	s_and_b32 s2, s2, 0xffff
	s_cmp_eq_u32 s9, 0
	s_cselect_b32 s3, ttmp9, s8
	s_delay_alu instid0(SALU_CYCLE_1) | instskip(SKIP_1) | instid1(VALU_DEP_1)
	v_mad_u32 v0, s3, s2, v0
	s_mov_b32 s2, exec_lo
	v_cmpx_gt_u64_e64 s[6:7], v[0:1]
	s_cbranch_execz .LBB20_2
; %bb.1:
	s_load_b64 s[0:1], s[0:1], 0x10
	v_mov_b64_e32 v[2:3], 0
	s_wait_kmcnt 0x0
	s_lshl_b64 s[0:1], s[0:1], 3
	s_delay_alu instid0(SALU_CYCLE_1) | instskip(NEXT) | instid1(SALU_CYCLE_1)
	s_add_nc_u64 s[0:1], s[4:5], s[0:1]
	v_lshl_add_u64 v[0:1], v[0:1], 3, s[0:1]
	global_store_b64 v[0:1], v[2:3], off
.LBB20_2:
	s_endpgm
	.section	.rodata,"a",@progbits
	.p2align	6, 0x0
	.amdhsa_kernel _Z11fill_kernelIdZ21hipblaslt_init_deviceIdEv8ABC_dims24hipblaslt_initializationbPT_mmmmmEUlmE8_EvS4_mmT0_
		.amdhsa_group_segment_fixed_size 0
		.amdhsa_private_segment_fixed_size 0
		.amdhsa_kernarg_size 288
		.amdhsa_user_sgpr_count 2
		.amdhsa_user_sgpr_dispatch_ptr 0
		.amdhsa_user_sgpr_queue_ptr 0
		.amdhsa_user_sgpr_kernarg_segment_ptr 1
		.amdhsa_user_sgpr_dispatch_id 0
		.amdhsa_user_sgpr_kernarg_preload_length 0
		.amdhsa_user_sgpr_kernarg_preload_offset 0
		.amdhsa_user_sgpr_private_segment_size 0
		.amdhsa_wavefront_size32 1
		.amdhsa_uses_dynamic_stack 0
		.amdhsa_enable_private_segment 0
		.amdhsa_system_sgpr_workgroup_id_x 1
		.amdhsa_system_sgpr_workgroup_id_y 0
		.amdhsa_system_sgpr_workgroup_id_z 0
		.amdhsa_system_sgpr_workgroup_info 0
		.amdhsa_system_vgpr_workitem_id 0
		.amdhsa_next_free_vgpr 4
		.amdhsa_next_free_sgpr 10
		.amdhsa_named_barrier_count 0
		.amdhsa_reserve_vcc 0
		.amdhsa_float_round_mode_32 0
		.amdhsa_float_round_mode_16_64 0
		.amdhsa_float_denorm_mode_32 3
		.amdhsa_float_denorm_mode_16_64 3
		.amdhsa_fp16_overflow 0
		.amdhsa_memory_ordered 1
		.amdhsa_forward_progress 1
		.amdhsa_inst_pref_size 2
		.amdhsa_round_robin_scheduling 0
		.amdhsa_exception_fp_ieee_invalid_op 0
		.amdhsa_exception_fp_denorm_src 0
		.amdhsa_exception_fp_ieee_div_zero 0
		.amdhsa_exception_fp_ieee_overflow 0
		.amdhsa_exception_fp_ieee_underflow 0
		.amdhsa_exception_fp_ieee_inexact 0
		.amdhsa_exception_int_div_zero 0
	.end_amdhsa_kernel
	.section	.text._Z11fill_kernelIdZ21hipblaslt_init_deviceIdEv8ABC_dims24hipblaslt_initializationbPT_mmmmmEUlmE8_EvS4_mmT0_,"axG",@progbits,_Z11fill_kernelIdZ21hipblaslt_init_deviceIdEv8ABC_dims24hipblaslt_initializationbPT_mmmmmEUlmE8_EvS4_mmT0_,comdat
.Lfunc_end20:
	.size	_Z11fill_kernelIdZ21hipblaslt_init_deviceIdEv8ABC_dims24hipblaslt_initializationbPT_mmmmmEUlmE8_EvS4_mmT0_, .Lfunc_end20-_Z11fill_kernelIdZ21hipblaslt_init_deviceIdEv8ABC_dims24hipblaslt_initializationbPT_mmmmmEUlmE8_EvS4_mmT0_
                                        ; -- End function
	.set _Z11fill_kernelIdZ21hipblaslt_init_deviceIdEv8ABC_dims24hipblaslt_initializationbPT_mmmmmEUlmE8_EvS4_mmT0_.num_vgpr, 4
	.set _Z11fill_kernelIdZ21hipblaslt_init_deviceIdEv8ABC_dims24hipblaslt_initializationbPT_mmmmmEUlmE8_EvS4_mmT0_.num_agpr, 0
	.set _Z11fill_kernelIdZ21hipblaslt_init_deviceIdEv8ABC_dims24hipblaslt_initializationbPT_mmmmmEUlmE8_EvS4_mmT0_.numbered_sgpr, 10
	.set _Z11fill_kernelIdZ21hipblaslt_init_deviceIdEv8ABC_dims24hipblaslt_initializationbPT_mmmmmEUlmE8_EvS4_mmT0_.num_named_barrier, 0
	.set _Z11fill_kernelIdZ21hipblaslt_init_deviceIdEv8ABC_dims24hipblaslt_initializationbPT_mmmmmEUlmE8_EvS4_mmT0_.private_seg_size, 0
	.set _Z11fill_kernelIdZ21hipblaslt_init_deviceIdEv8ABC_dims24hipblaslt_initializationbPT_mmmmmEUlmE8_EvS4_mmT0_.uses_vcc, 0
	.set _Z11fill_kernelIdZ21hipblaslt_init_deviceIdEv8ABC_dims24hipblaslt_initializationbPT_mmmmmEUlmE8_EvS4_mmT0_.uses_flat_scratch, 0
	.set _Z11fill_kernelIdZ21hipblaslt_init_deviceIdEv8ABC_dims24hipblaslt_initializationbPT_mmmmmEUlmE8_EvS4_mmT0_.has_dyn_sized_stack, 0
	.set _Z11fill_kernelIdZ21hipblaslt_init_deviceIdEv8ABC_dims24hipblaslt_initializationbPT_mmmmmEUlmE8_EvS4_mmT0_.has_recursion, 0
	.set _Z11fill_kernelIdZ21hipblaslt_init_deviceIdEv8ABC_dims24hipblaslt_initializationbPT_mmmmmEUlmE8_EvS4_mmT0_.has_indirect_call, 0
	.section	.AMDGPU.csdata,"",@progbits
; Kernel info:
; codeLenInByte = 152
; TotalNumSgprs: 10
; NumVgprs: 4
; ScratchSize: 0
; MemoryBound: 0
; FloatMode: 240
; IeeeMode: 1
; LDSByteSize: 0 bytes/workgroup (compile time only)
; SGPRBlocks: 0
; VGPRBlocks: 0
; NumSGPRsForWavesPerEU: 10
; NumVGPRsForWavesPerEU: 4
; NamedBarCnt: 0
; Occupancy: 16
; WaveLimiterHint : 0
; COMPUTE_PGM_RSRC2:SCRATCH_EN: 0
; COMPUTE_PGM_RSRC2:USER_SGPR: 2
; COMPUTE_PGM_RSRC2:TRAP_HANDLER: 0
; COMPUTE_PGM_RSRC2:TGID_X_EN: 1
; COMPUTE_PGM_RSRC2:TGID_Y_EN: 0
; COMPUTE_PGM_RSRC2:TGID_Z_EN: 0
; COMPUTE_PGM_RSRC2:TIDIG_COMP_CNT: 0
	.section	.text._Z11fill_kernelIdZ21hipblaslt_init_deviceIdEv8ABC_dims24hipblaslt_initializationbPT_mmmmmEUlmE9_EvS4_mmT0_,"axG",@progbits,_Z11fill_kernelIdZ21hipblaslt_init_deviceIdEv8ABC_dims24hipblaslt_initializationbPT_mmmmmEUlmE9_EvS4_mmT0_,comdat
	.protected	_Z11fill_kernelIdZ21hipblaslt_init_deviceIdEv8ABC_dims24hipblaslt_initializationbPT_mmmmmEUlmE9_EvS4_mmT0_ ; -- Begin function _Z11fill_kernelIdZ21hipblaslt_init_deviceIdEv8ABC_dims24hipblaslt_initializationbPT_mmmmmEUlmE9_EvS4_mmT0_
	.globl	_Z11fill_kernelIdZ21hipblaslt_init_deviceIdEv8ABC_dims24hipblaslt_initializationbPT_mmmmmEUlmE9_EvS4_mmT0_
	.p2align	8
	.type	_Z11fill_kernelIdZ21hipblaslt_init_deviceIdEv8ABC_dims24hipblaslt_initializationbPT_mmmmmEUlmE9_EvS4_mmT0_,@function
_Z11fill_kernelIdZ21hipblaslt_init_deviceIdEv8ABC_dims24hipblaslt_initializationbPT_mmmmmEUlmE9_EvS4_mmT0_: ; @_Z11fill_kernelIdZ21hipblaslt_init_deviceIdEv8ABC_dims24hipblaslt_initializationbPT_mmmmmEUlmE9_EvS4_mmT0_
; %bb.0:
	s_clause 0x1
	s_load_b32 s2, s[0:1], 0x2c
	s_load_b128 s[4:7], s[0:1], 0x0
	s_bfe_u32 s3, ttmp6, 0x4000c
	s_and_b32 s8, ttmp6, 15
	s_add_co_i32 s3, s3, 1
	s_getreg_b32 s9, hwreg(HW_REG_IB_STS2, 6, 4)
	s_mul_i32 s3, ttmp9, s3
	v_mov_b32_e32 v1, 0
	s_add_co_i32 s8, s8, s3
	s_wait_kmcnt 0x0
	s_and_b32 s2, s2, 0xffff
	s_cmp_eq_u32 s9, 0
	s_cselect_b32 s3, ttmp9, s8
	s_delay_alu instid0(SALU_CYCLE_1) | instskip(SKIP_1) | instid1(VALU_DEP_1)
	v_mad_u32 v0, s3, s2, v0
	s_mov_b32 s2, exec_lo
	v_cmpx_gt_u64_e64 s[6:7], v[0:1]
	s_cbranch_execz .LBB21_6
; %bb.1:
	s_load_b96 s[0:2], s[0:1], 0x10
	s_wait_kmcnt 0x0
	v_add_nc_u64_e32 v[0:1], s[0:1], v[0:1]
	s_mov_b32 s0, 0xb90ffb1d
	s_delay_alu instid0(VALU_DEP_1) | instskip(NEXT) | instid1(VALU_DEP_1)
	v_add_nc_u32_e32 v2, s2, v0
	v_mad_u32 v3, v2, s0, 0xdc6d3ef
	s_mov_b32 s0, 0x6ab9d291
	s_delay_alu instid0(VALU_DEP_1) | instskip(SKIP_3) | instid1(VALU_DEP_2)
	v_lshrrev_b32_e32 v5, 2, v3
	v_mad_u32 v4, 0x10dcd, v2, 1
	v_mad_u32 v6, v2, s0, 0xdfb3c992
	s_mov_b32 s0, exec_lo
	v_dual_lshlrev_b32 v7, 4, v4 :: v_dual_bitop2_b32 v3, v5, v3 bitop3:0x14
	s_delay_alu instid0(VALU_DEP_1) | instskip(NEXT) | instid1(VALU_DEP_1)
	v_dual_lshlrev_b32 v5, 1, v3 :: v_dual_lshrrev_b32 v8, 2, v6
	v_xor_b32_e32 v6, v8, v6
	s_delay_alu instid0(VALU_DEP_2) | instskip(NEXT) | instid1(VALU_DEP_1)
	v_xor_b32_e32 v5, v7, v5
	v_xor3_b32 v3, v5, v4, v3
	s_delay_alu instid0(VALU_DEP_1) | instskip(NEXT) | instid1(VALU_DEP_1)
	v_dual_lshlrev_b32 v5, 4, v3 :: v_dual_lshlrev_b32 v4, 1, v6
	v_xor_b32_e32 v5, v4, v5
	v_xor_b32_e32 v4, 0x587c5, v2
	s_delay_alu instid0(VALU_DEP_2) | instskip(NEXT) | instid1(VALU_DEP_1)
	v_xor3_b32 v2, v5, v6, v3
                                        ; implicit-def: $vgpr6
                                        ; implicit-def: $vgpr5
	v_add3_u32 v2, v4, v2, 0xb0f8a
	s_delay_alu instid0(VALU_DEP_1) | instskip(NEXT) | instid1(VALU_DEP_1)
	v_cvt_f32_u32_e32 v2, v2
	v_mul_f32_e32 v2, 0x2f800000, v2
	s_delay_alu instid0(VALU_DEP_1) | instskip(NEXT) | instid1(VALU_DEP_1)
	v_mul_f32_e32 v2, 0x40c90fdb, v2
	v_cmpx_ngt_f32_e32 0x48000000, v2
	s_xor_b32 s2, exec_lo, s0
	s_cbranch_execz .LBB21_3
; %bb.2:
	s_mov_b32 s0, 0x7fffff
	v_mov_b32_e32 v7, 0
	v_and_or_b32 v6, v2, s0, 0x800000
	s_mov_b64 s[0:1], 0xfe5163ab
	v_lshrrev_b32_e32 v5, 23, v2
	s_delay_alu instid0(VALU_DEP_2) | instskip(NEXT) | instid1(VALU_DEP_1)
	v_mul_u64_e32 v[8:9], s[0:1], v[6:7]
	v_dual_mov_b32 v10, v9 :: v_dual_mov_b32 v11, v7
	v_dual_mov_b32 v13, v7 :: v_dual_mov_b32 v15, v7
	;; [unrolled: 1-line block ×3, first 2 shown]
	s_delay_alu instid0(VALU_DEP_3) | instskip(NEXT) | instid1(VALU_DEP_1)
	v_mad_nc_u64_u32 v[10:11], 0x3c439041, v6, v[10:11]
	v_mov_b32_e32 v12, v11
	s_delay_alu instid0(VALU_DEP_1) | instskip(NEXT) | instid1(VALU_DEP_1)
	v_mad_nc_u64_u32 v[12:13], 0xdb629599, v6, v[12:13]
	v_mov_b32_e32 v14, v13
	s_delay_alu instid0(VALU_DEP_1) | instskip(NEXT) | instid1(VALU_DEP_1)
	;; [unrolled: 3-line block ×3, first 2 shown]
	v_mad_nc_u64_u32 v[16:17], 0xfc2757d1, v6, v[16:17]
	v_dual_mov_b32 v19, v7 :: v_dual_mov_b32 v18, v17
	s_delay_alu instid0(VALU_DEP_1) | instskip(NEXT) | instid1(VALU_DEP_1)
	v_mad_nc_u64_u32 v[18:19], 0x4e441529, v6, v[18:19]
	v_dual_mov_b32 v20, v19 :: v_dual_add_nc_u32 v5, 0xffffff88, v5
	s_delay_alu instid0(VALU_DEP_1) | instskip(NEXT) | instid1(VALU_DEP_2)
	v_cmp_lt_u32_e32 vcc_lo, 63, v5
	v_mad_nc_u64_u32 v[6:7], 0xa2f9836e, v6, v[20:21]
	v_cndmask_b32_e64 v9, 0, 0xffffffc0, vcc_lo
	v_dual_cndmask_b32 v11, v18, v14 :: v_dual_cndmask_b32 v8, v12, v8
	s_delay_alu instid0(VALU_DEP_2) | instskip(NEXT) | instid1(VALU_DEP_1)
	v_add_nc_u32_e32 v5, v9, v5
	v_cmp_lt_u32_e64 s0, 31, v5
	v_dual_cndmask_b32 v6, v6, v16 :: v_dual_cndmask_b32 v7, v7, v18
	s_delay_alu instid0(VALU_DEP_2) | instskip(NEXT) | instid1(VALU_DEP_1)
	v_cndmask_b32_e64 v9, 0, 0xffffffe0, s0
	v_add_nc_u32_e32 v5, v9, v5
	s_delay_alu instid0(VALU_DEP_1) | instskip(NEXT) | instid1(VALU_DEP_1)
	v_cmp_lt_u32_e64 s1, 31, v5
	v_cndmask_b32_e64 v9, 0, 0xffffffe0, s1
	s_delay_alu instid0(VALU_DEP_1) | instskip(SKIP_2) | instid1(VALU_DEP_3)
	v_dual_cndmask_b32 v13, v16, v12, vcc_lo :: v_dual_add_nc_u32 v5, v9, v5
	v_cndmask_b32_e32 v9, v14, v10, vcc_lo
	v_dual_cndmask_b32 v10, v6, v11, s0 :: v_dual_cndmask_b32 v6, v7, v6, s0
	v_cndmask_b32_e64 v7, v11, v13, s0
	s_delay_alu instid0(VALU_DEP_4) | instskip(NEXT) | instid1(VALU_DEP_4)
	v_sub_nc_u32_e32 v11, 32, v5
	v_cndmask_b32_e64 v13, v13, v9, s0
	v_cmp_eq_u32_e32 vcc_lo, 0, v5
	v_cndmask_b32_e64 v6, v6, v10, s1
	s_delay_alu instid0(VALU_DEP_3) | instskip(NEXT) | instid1(VALU_DEP_1)
	v_dual_cndmask_b32 v10, v10, v7, s1 :: v_dual_cndmask_b32 v7, v7, v13, s1
	v_alignbit_b32 v14, v6, v10, v11
	s_delay_alu instid0(VALU_DEP_2) | instskip(NEXT) | instid1(VALU_DEP_2)
	v_alignbit_b32 v12, v10, v7, v11
	v_dual_cndmask_b32 v5, v14, v6, vcc_lo :: v_dual_cndmask_b32 v6, v9, v8, s0
	s_delay_alu instid0(VALU_DEP_1) | instskip(NEXT) | instid1(VALU_DEP_1)
	v_bfe_u32 v9, v5, 29, 1
	v_dual_cndmask_b32 v8, v12, v10, vcc_lo :: v_dual_sub_nc_u32 v12, 0, v9
	s_delay_alu instid0(VALU_DEP_1) | instskip(NEXT) | instid1(VALU_DEP_1)
	v_alignbit_b32 v10, v5, v8, 30
	v_dual_cndmask_b32 v6, v13, v6, s1 :: v_dual_bitop2_b32 v10, v10, v12 bitop3:0x14
	s_delay_alu instid0(VALU_DEP_1) | instskip(NEXT) | instid1(VALU_DEP_1)
	v_alignbit_b32 v11, v7, v6, v11
	v_cndmask_b32_e32 v7, v11, v7, vcc_lo
	s_delay_alu instid0(VALU_DEP_3) | instskip(NEXT) | instid1(VALU_DEP_2)
	v_clz_i32_u32_e32 v11, v10
	v_alignbit_b32 v6, v7, v6, 30
	s_delay_alu instid0(VALU_DEP_2) | instskip(NEXT) | instid1(VALU_DEP_2)
	v_min_u32_e32 v11, 32, v11
	v_xor_b32_e32 v6, v6, v12
	v_alignbit_b32 v8, v8, v7, 30
	s_delay_alu instid0(VALU_DEP_1) | instskip(SKIP_1) | instid1(VALU_DEP_1)
	v_dual_lshlrev_b32 v13, 23, v11 :: v_dual_bitop2_b32 v7, v8, v12 bitop3:0x14
	v_dual_sub_nc_u32 v8, 31, v11 :: v_dual_lshrrev_b32 v12, 29, v5
	v_alignbit_b32 v10, v10, v7, v8
	v_alignbit_b32 v6, v7, v6, v8
	s_delay_alu instid0(VALU_DEP_3) | instskip(NEXT) | instid1(VALU_DEP_2)
	v_lshlrev_b32_e32 v7, 31, v12
	v_alignbit_b32 v8, v10, v6, 9
	s_delay_alu instid0(VALU_DEP_2) | instskip(NEXT) | instid1(VALU_DEP_2)
	v_dual_lshrrev_b32 v10, 9, v10 :: v_dual_bitop2_b32 v12, 0.5, v7 bitop3:0x54
	v_clz_i32_u32_e32 v14, v8
	s_delay_alu instid0(VALU_DEP_2) | instskip(SKIP_1) | instid1(VALU_DEP_3)
	v_sub_nc_u32_e32 v12, v12, v13
	v_or_b32_e32 v7, 0x33000000, v7
	v_min_u32_e32 v13, 32, v14
	s_delay_alu instid0(VALU_DEP_1) | instskip(NEXT) | instid1(VALU_DEP_4)
	v_add_lshl_u32 v11, v13, v11, 23
	v_or_b32_e32 v10, v10, v12
	v_not_b32_e32 v12, v13
	s_delay_alu instid0(VALU_DEP_2) | instskip(NEXT) | instid1(VALU_DEP_2)
	v_dual_mul_f32 v14, 0x3fc90fda, v10 :: v_dual_sub_nc_u32 v7, v7, v11
	v_alignbit_b32 v6, v8, v6, v12
	s_delay_alu instid0(VALU_DEP_2) | instskip(NEXT) | instid1(VALU_DEP_2)
	v_fma_f32 v8, 0x3fc90fda, v10, -v14
	v_lshrrev_b32_e32 v6, 9, v6
	s_delay_alu instid0(VALU_DEP_2) | instskip(NEXT) | instid1(VALU_DEP_2)
	v_fmamk_f32 v8, v10, 0x33a22168, v8
	v_or_b32_e32 v6, v7, v6
	s_delay_alu instid0(VALU_DEP_1) | instskip(NEXT) | instid1(VALU_DEP_1)
	v_fmac_f32_e32 v8, 0x3fc90fda, v6
	v_dual_add_f32 v5, v14, v8 :: v_dual_lshrrev_b32 v6, 30, v5
	s_delay_alu instid0(VALU_DEP_1)
	v_add_nc_u32_e32 v6, v9, v6
.LBB21_3:
	s_and_not1_saveexec_b32 s0, s2
; %bb.4:
	v_mul_f32_e32 v5, 0x3f22f983, v2
	s_delay_alu instid0(VALU_DEP_1) | instskip(NEXT) | instid1(VALU_DEP_1)
	v_rndne_f32_e32 v6, v5
	v_fmamk_f32 v5, v6, 0xbfc90fda, v2
	s_delay_alu instid0(VALU_DEP_1) | instskip(NEXT) | instid1(VALU_DEP_1)
	v_fmamk_f32 v5, v6, 0xb3a22168, v5
	v_fmamk_f32 v5, v6, 0xa7c234c4, v5
	v_cvt_i32_f32_e32 v6, v6
; %bb.5:
	s_or_b32 exec_lo, exec_lo, s0
	v_add3_u32 v3, v4, v3, 0x587c5
	s_mov_b32 s0, 0xb94c1982
	s_mov_b32 s1, 0x37d75334
	v_lshl_add_u64 v[0:1], v[0:1], 3, s[4:5]
	s_delay_alu instid0(VALU_DEP_2) | instskip(NEXT) | instid1(VALU_DEP_1)
	v_cvt_f32_u32_e32 v3, v3
	v_mul_f32_e32 v3, 0x2f800000, v3
	s_delay_alu instid0(VALU_DEP_1) | instskip(SKIP_1) | instid1(VALU_DEP_1)
	v_cmp_ngt_f32_e32 vcc_lo, 0x2edbe6ff, v3
	v_cndmask_b32_e32 v3, 0x2edbe6ff, v3, vcc_lo
	v_cmp_gt_f32_e32 vcc_lo, 0x800000, v3
	v_cndmask_b32_e64 v4, 0, 32, vcc_lo
	v_cndmask_b32_e64 v7, 0, 0x41b17218, vcc_lo
	s_delay_alu instid0(VALU_DEP_2) | instskip(NEXT) | instid1(VALU_DEP_1)
	v_ldexp_f32 v3, v3, v4
	v_log_f32_e32 v3, v3
	v_nop
	s_delay_alu instid0(TRANS32_DEP_1) | instskip(SKIP_1) | instid1(VALU_DEP_2)
	v_mul_f32_e32 v4, 0x3f317217, v3
	v_cmp_gt_f32_e64 vcc_lo, 0x7f800000, |v3|
	v_fma_f32 v4, 0x3f317217, v3, -v4
	s_delay_alu instid0(VALU_DEP_1) | instskip(NEXT) | instid1(VALU_DEP_1)
	v_fmamk_f32 v4, v3, 0x3377d1cf, v4
	v_fmac_f32_e32 v4, 0x3f317217, v3
	s_delay_alu instid0(VALU_DEP_1) | instskip(NEXT) | instid1(VALU_DEP_1)
	v_cndmask_b32_e32 v3, v3, v4, vcc_lo
	v_dual_sub_f32 v3, v3, v7 :: v_dual_mul_f32 v7, v5, v5
	s_delay_alu instid0(VALU_DEP_1) | instskip(NEXT) | instid1(VALU_DEP_2)
	v_mul_f32_e32 v3, -2.0, v3
	v_fmaak_f32 v9, s0, v7, 0x3c0881c4
	v_fmaak_f32 v10, s1, v7, 0xbab64f3b
	s_delay_alu instid0(VALU_DEP_3) | instskip(SKIP_1) | instid1(VALU_DEP_2)
	v_mul_f32_e32 v4, 0x4f800000, v3
	v_cmp_gt_f32_e32 vcc_lo, 0xf800000, v3
	v_cndmask_b32_e32 v3, v3, v4, vcc_lo
	s_delay_alu instid0(VALU_DEP_1) | instskip(SKIP_1) | instid1(TRANS32_DEP_1)
	v_sqrt_f32_e32 v4, v3
	v_nop
	v_dual_add_nc_u32 v8, -1, v4 :: v_dual_add_nc_u32 v11, 1, v4
	s_delay_alu instid0(VALU_DEP_1) | instskip(NEXT) | instid1(VALU_DEP_1)
	v_dual_fma_f32 v12, -v8, v4, v3 :: v_dual_fma_f32 v13, -v11, v4, v3
	v_cmp_ge_f32_e64 s0, 0, v12
	s_delay_alu instid0(VALU_DEP_1) | instskip(NEXT) | instid1(VALU_DEP_3)
	v_cndmask_b32_e64 v4, v4, v8, s0
	v_cmp_lt_f32_e64 s0, 0, v13
	s_delay_alu instid0(VALU_DEP_1) | instskip(SKIP_1) | instid1(VALU_DEP_1)
	v_cndmask_b32_e64 v4, v4, v11, s0
	v_fmaak_f32 v9, v7, v9, 0xbe2aaa9d
	v_mul_f32_e32 v8, v7, v9
	s_delay_alu instid0(VALU_DEP_1) | instskip(NEXT) | instid1(VALU_DEP_4)
	v_fmac_f32_e32 v5, v5, v8
	v_mul_f32_e32 v8, 0x37800000, v4
	s_delay_alu instid0(VALU_DEP_1) | instskip(SKIP_1) | instid1(VALU_DEP_1)
	v_cndmask_b32_e32 v4, v4, v8, vcc_lo
	v_fmaak_f32 v10, v7, v10, 0x3d2aabf7
	v_fmaak_f32 v9, v7, v10, 0xbf000004
	v_dual_lshlrev_b32 v6, 30, v6 :: v_dual_bitop2_b32 v10, 1, v6 bitop3:0x40
	v_cmp_class_f32_e64 vcc_lo, v3, 0x260
	s_delay_alu instid0(VALU_DEP_3) | instskip(NEXT) | instid1(VALU_DEP_3)
	v_fma_f32 v7, v7, v9, 1.0
	v_cmp_eq_u32_e64 s0, 0, v10
	v_cndmask_b32_e32 v3, v4, v3, vcc_lo
	v_cmp_lg_f32_e32 vcc_lo, 0x7f800000, v2
	s_delay_alu instid0(VALU_DEP_3) | instskip(NEXT) | instid1(VALU_DEP_1)
	v_cndmask_b32_e64 v5, -v5, v7, s0
	v_bitop3_b32 v5, v6, v5, 0x80000000 bitop3:0x6c
	s_delay_alu instid0(VALU_DEP_1) | instskip(NEXT) | instid1(VALU_DEP_1)
	v_cndmask_b32_e32 v2, 0x7fc00000, v5, vcc_lo
	v_mul_f32_e32 v2, v3, v2
	s_delay_alu instid0(VALU_DEP_1)
	v_cvt_f64_f32_e32 v[2:3], v2
	global_store_b64 v[0:1], v[2:3], off
.LBB21_6:
	s_endpgm
	.section	.rodata,"a",@progbits
	.p2align	6, 0x0
	.amdhsa_kernel _Z11fill_kernelIdZ21hipblaslt_init_deviceIdEv8ABC_dims24hipblaslt_initializationbPT_mmmmmEUlmE9_EvS4_mmT0_
		.amdhsa_group_segment_fixed_size 0
		.amdhsa_private_segment_fixed_size 0
		.amdhsa_kernarg_size 288
		.amdhsa_user_sgpr_count 2
		.amdhsa_user_sgpr_dispatch_ptr 0
		.amdhsa_user_sgpr_queue_ptr 0
		.amdhsa_user_sgpr_kernarg_segment_ptr 1
		.amdhsa_user_sgpr_dispatch_id 0
		.amdhsa_user_sgpr_kernarg_preload_length 0
		.amdhsa_user_sgpr_kernarg_preload_offset 0
		.amdhsa_user_sgpr_private_segment_size 0
		.amdhsa_wavefront_size32 1
		.amdhsa_uses_dynamic_stack 0
		.amdhsa_enable_private_segment 0
		.amdhsa_system_sgpr_workgroup_id_x 1
		.amdhsa_system_sgpr_workgroup_id_y 0
		.amdhsa_system_sgpr_workgroup_id_z 0
		.amdhsa_system_sgpr_workgroup_info 0
		.amdhsa_system_vgpr_workitem_id 0
		.amdhsa_next_free_vgpr 22
		.amdhsa_next_free_sgpr 10
		.amdhsa_named_barrier_count 0
		.amdhsa_reserve_vcc 1
		.amdhsa_float_round_mode_32 0
		.amdhsa_float_round_mode_16_64 0
		.amdhsa_float_denorm_mode_32 3
		.amdhsa_float_denorm_mode_16_64 3
		.amdhsa_fp16_overflow 0
		.amdhsa_memory_ordered 1
		.amdhsa_forward_progress 1
		.amdhsa_inst_pref_size 13
		.amdhsa_round_robin_scheduling 0
		.amdhsa_exception_fp_ieee_invalid_op 0
		.amdhsa_exception_fp_denorm_src 0
		.amdhsa_exception_fp_ieee_div_zero 0
		.amdhsa_exception_fp_ieee_overflow 0
		.amdhsa_exception_fp_ieee_underflow 0
		.amdhsa_exception_fp_ieee_inexact 0
		.amdhsa_exception_int_div_zero 0
	.end_amdhsa_kernel
	.section	.text._Z11fill_kernelIdZ21hipblaslt_init_deviceIdEv8ABC_dims24hipblaslt_initializationbPT_mmmmmEUlmE9_EvS4_mmT0_,"axG",@progbits,_Z11fill_kernelIdZ21hipblaslt_init_deviceIdEv8ABC_dims24hipblaslt_initializationbPT_mmmmmEUlmE9_EvS4_mmT0_,comdat
.Lfunc_end21:
	.size	_Z11fill_kernelIdZ21hipblaslt_init_deviceIdEv8ABC_dims24hipblaslt_initializationbPT_mmmmmEUlmE9_EvS4_mmT0_, .Lfunc_end21-_Z11fill_kernelIdZ21hipblaslt_init_deviceIdEv8ABC_dims24hipblaslt_initializationbPT_mmmmmEUlmE9_EvS4_mmT0_
                                        ; -- End function
	.set _Z11fill_kernelIdZ21hipblaslt_init_deviceIdEv8ABC_dims24hipblaslt_initializationbPT_mmmmmEUlmE9_EvS4_mmT0_.num_vgpr, 22
	.set _Z11fill_kernelIdZ21hipblaslt_init_deviceIdEv8ABC_dims24hipblaslt_initializationbPT_mmmmmEUlmE9_EvS4_mmT0_.num_agpr, 0
	.set _Z11fill_kernelIdZ21hipblaslt_init_deviceIdEv8ABC_dims24hipblaslt_initializationbPT_mmmmmEUlmE9_EvS4_mmT0_.numbered_sgpr, 10
	.set _Z11fill_kernelIdZ21hipblaslt_init_deviceIdEv8ABC_dims24hipblaslt_initializationbPT_mmmmmEUlmE9_EvS4_mmT0_.num_named_barrier, 0
	.set _Z11fill_kernelIdZ21hipblaslt_init_deviceIdEv8ABC_dims24hipblaslt_initializationbPT_mmmmmEUlmE9_EvS4_mmT0_.private_seg_size, 0
	.set _Z11fill_kernelIdZ21hipblaslt_init_deviceIdEv8ABC_dims24hipblaslt_initializationbPT_mmmmmEUlmE9_EvS4_mmT0_.uses_vcc, 1
	.set _Z11fill_kernelIdZ21hipblaslt_init_deviceIdEv8ABC_dims24hipblaslt_initializationbPT_mmmmmEUlmE9_EvS4_mmT0_.uses_flat_scratch, 0
	.set _Z11fill_kernelIdZ21hipblaslt_init_deviceIdEv8ABC_dims24hipblaslt_initializationbPT_mmmmmEUlmE9_EvS4_mmT0_.has_dyn_sized_stack, 0
	.set _Z11fill_kernelIdZ21hipblaslt_init_deviceIdEv8ABC_dims24hipblaslt_initializationbPT_mmmmmEUlmE9_EvS4_mmT0_.has_recursion, 0
	.set _Z11fill_kernelIdZ21hipblaslt_init_deviceIdEv8ABC_dims24hipblaslt_initializationbPT_mmmmmEUlmE9_EvS4_mmT0_.has_indirect_call, 0
	.section	.AMDGPU.csdata,"",@progbits
; Kernel info:
; codeLenInByte = 1604
; TotalNumSgprs: 12
; NumVgprs: 22
; ScratchSize: 0
; MemoryBound: 0
; FloatMode: 240
; IeeeMode: 1
; LDSByteSize: 0 bytes/workgroup (compile time only)
; SGPRBlocks: 0
; VGPRBlocks: 1
; NumSGPRsForWavesPerEU: 12
; NumVGPRsForWavesPerEU: 22
; NamedBarCnt: 0
; Occupancy: 16
; WaveLimiterHint : 0
; COMPUTE_PGM_RSRC2:SCRATCH_EN: 0
; COMPUTE_PGM_RSRC2:USER_SGPR: 2
; COMPUTE_PGM_RSRC2:TRAP_HANDLER: 0
; COMPUTE_PGM_RSRC2:TGID_X_EN: 1
; COMPUTE_PGM_RSRC2:TGID_Y_EN: 0
; COMPUTE_PGM_RSRC2:TGID_Z_EN: 0
; COMPUTE_PGM_RSRC2:TIDIG_COMP_CNT: 0
	.section	.text._Z11fill_kernelIDF16_Z21hipblaslt_init_deviceIDF16_Ev8ABC_dims24hipblaslt_initializationbPT_mmmmmEUlmE_EvS4_mmT0_,"axG",@progbits,_Z11fill_kernelIDF16_Z21hipblaslt_init_deviceIDF16_Ev8ABC_dims24hipblaslt_initializationbPT_mmmmmEUlmE_EvS4_mmT0_,comdat
	.protected	_Z11fill_kernelIDF16_Z21hipblaslt_init_deviceIDF16_Ev8ABC_dims24hipblaslt_initializationbPT_mmmmmEUlmE_EvS4_mmT0_ ; -- Begin function _Z11fill_kernelIDF16_Z21hipblaslt_init_deviceIDF16_Ev8ABC_dims24hipblaslt_initializationbPT_mmmmmEUlmE_EvS4_mmT0_
	.globl	_Z11fill_kernelIDF16_Z21hipblaslt_init_deviceIDF16_Ev8ABC_dims24hipblaslt_initializationbPT_mmmmmEUlmE_EvS4_mmT0_
	.p2align	8
	.type	_Z11fill_kernelIDF16_Z21hipblaslt_init_deviceIDF16_Ev8ABC_dims24hipblaslt_initializationbPT_mmmmmEUlmE_EvS4_mmT0_,@function
_Z11fill_kernelIDF16_Z21hipblaslt_init_deviceIDF16_Ev8ABC_dims24hipblaslt_initializationbPT_mmmmmEUlmE_EvS4_mmT0_: ; @_Z11fill_kernelIDF16_Z21hipblaslt_init_deviceIDF16_Ev8ABC_dims24hipblaslt_initializationbPT_mmmmmEUlmE_EvS4_mmT0_
; %bb.0:
	s_clause 0x1
	s_load_b32 s2, s[0:1], 0xec
	s_load_b128 s[4:7], s[0:1], 0x0
	s_bfe_u32 s3, ttmp6, 0x4000c
	s_and_b32 s8, ttmp6, 15
	s_add_co_i32 s3, s3, 1
	s_getreg_b32 s9, hwreg(HW_REG_IB_STS2, 6, 4)
	s_mul_i32 s3, ttmp9, s3
	v_mov_b32_e32 v1, 0
	s_add_co_i32 s8, s8, s3
	s_wait_kmcnt 0x0
	s_and_b32 s2, s2, 0xffff
	s_cmp_eq_u32 s9, 0
	s_cselect_b32 s3, ttmp9, s8
	s_delay_alu instid0(SALU_CYCLE_1) | instskip(SKIP_1) | instid1(VALU_DEP_1)
	v_mad_u32 v0, s3, s2, v0
	s_mov_b32 s2, exec_lo
	v_cmpx_gt_u64_e64 s[6:7], v[0:1]
	s_cbranch_execz .LBB22_2
; %bb.1:
	s_load_b64 s[2:3], s[0:1], 0x10
	s_wait_kmcnt 0x0
	v_add_nc_u64_e32 v[0:1], s[2:3], v[0:1]
	s_mov_b32 s2, 0x19660d
	s_delay_alu instid0(VALU_DEP_1) | instid1(SALU_CYCLE_1)
	v_mad_nc_u64_u32 v[2:3], v0, s2, 0x3c6ef35f
	s_delay_alu instid0(VALU_DEP_1) | instskip(SKIP_1) | instid1(VALU_DEP_2)
	v_mad_u32 v3, 0x19660d, v1, v3
	v_lshl_add_u64 v[0:1], v[0:1], 1, s[4:5]
	v_lshlrev_b64_e32 v[4:5], 13, v[2:3]
	s_delay_alu instid0(VALU_DEP_1) | instskip(NEXT) | instid1(VALU_DEP_2)
	v_xor_b32_e32 v3, v5, v3
	v_xor_b32_e32 v2, v4, v2
	s_delay_alu instid0(VALU_DEP_1) | instskip(NEXT) | instid1(VALU_DEP_1)
	v_lshrrev_b64 v[4:5], 17, v[2:3]
	v_xor_b32_e32 v3, v5, v3
	s_delay_alu instid0(VALU_DEP_2) | instskip(NEXT) | instid1(VALU_DEP_1)
	v_xor_b32_e32 v2, v4, v2
	v_lshlrev_b64_e32 v[4:5], 5, v[2:3]
	s_delay_alu instid0(VALU_DEP_1) | instskip(NEXT) | instid1(VALU_DEP_2)
	v_xor_b32_e32 v3, v5, v3
	v_xor_b32_e32 v2, v4, v2
	s_delay_alu instid0(VALU_DEP_1) | instskip(NEXT) | instid1(VALU_DEP_1)
	v_lshlrev_b64_e32 v[4:5], 13, v[2:3]
	v_xor_b32_e32 v3, v5, v3
	s_delay_alu instid0(VALU_DEP_2) | instskip(NEXT) | instid1(VALU_DEP_1)
	v_xor_b32_e32 v2, v4, v2
	v_lshrrev_b64 v[4:5], 17, v[2:3]
	s_delay_alu instid0(VALU_DEP_1) | instskip(NEXT) | instid1(VALU_DEP_2)
	v_xor_b32_e32 v3, v5, v3
	v_xor_b32_e32 v2, v4, v2
	s_delay_alu instid0(VALU_DEP_1) | instskip(NEXT) | instid1(VALU_DEP_1)
	v_lshlrev_b64_e32 v[4:5], 5, v[2:3]
	v_xor_b32_e32 v3, v5, v3
	s_delay_alu instid0(VALU_DEP_2) | instskip(NEXT) | instid1(VALU_DEP_1)
	v_xor_b32_e32 v2, v4, v2
	v_lshlrev_b64_e32 v[4:5], 13, v[2:3]
	s_delay_alu instid0(VALU_DEP_1) | instskip(NEXT) | instid1(VALU_DEP_2)
	v_xor_b32_e32 v3, v5, v3
	v_xor_b32_e32 v2, v4, v2
	s_delay_alu instid0(VALU_DEP_1) | instskip(NEXT) | instid1(VALU_DEP_1)
	v_alignbit_b32 v3, v3, v2, 17
	v_xor_b32_e32 v2, v3, v2
	s_delay_alu instid0(VALU_DEP_1) | instskip(NEXT) | instid1(VALU_DEP_1)
	v_lshlrev_b32_e32 v3, 5, v2
	v_xor_b32_e32 v2, v3, v2
	s_delay_alu instid0(VALU_DEP_1) | instskip(NEXT) | instid1(VALU_DEP_1)
	v_mul_hi_u32 v3, 0x51eb851f, v2
	v_lshrrev_b32_e32 v3, 5, v3
	s_delay_alu instid0(VALU_DEP_1) | instskip(NEXT) | instid1(VALU_DEP_1)
	v_mul_lo_u32 v3, 0x64, v3
	v_sub_nc_u32_e32 v2, v2, v3
	global_load_u16 v2, v2, s[0:1] offset:24 scale_offset
	s_wait_loadcnt 0x0
	global_store_b16 v[0:1], v2, off
.LBB22_2:
	s_endpgm
	.section	.rodata,"a",@progbits
	.p2align	6, 0x0
	.amdhsa_kernel _Z11fill_kernelIDF16_Z21hipblaslt_init_deviceIDF16_Ev8ABC_dims24hipblaslt_initializationbPT_mmmmmEUlmE_EvS4_mmT0_
		.amdhsa_group_segment_fixed_size 0
		.amdhsa_private_segment_fixed_size 0
		.amdhsa_kernarg_size 480
		.amdhsa_user_sgpr_count 2
		.amdhsa_user_sgpr_dispatch_ptr 0
		.amdhsa_user_sgpr_queue_ptr 0
		.amdhsa_user_sgpr_kernarg_segment_ptr 1
		.amdhsa_user_sgpr_dispatch_id 0
		.amdhsa_user_sgpr_kernarg_preload_length 0
		.amdhsa_user_sgpr_kernarg_preload_offset 0
		.amdhsa_user_sgpr_private_segment_size 0
		.amdhsa_wavefront_size32 1
		.amdhsa_uses_dynamic_stack 0
		.amdhsa_enable_private_segment 0
		.amdhsa_system_sgpr_workgroup_id_x 1
		.amdhsa_system_sgpr_workgroup_id_y 0
		.amdhsa_system_sgpr_workgroup_id_z 0
		.amdhsa_system_sgpr_workgroup_info 0
		.amdhsa_system_vgpr_workitem_id 0
		.amdhsa_next_free_vgpr 6
		.amdhsa_next_free_sgpr 10
		.amdhsa_named_barrier_count 0
		.amdhsa_reserve_vcc 0
		.amdhsa_float_round_mode_32 0
		.amdhsa_float_round_mode_16_64 0
		.amdhsa_float_denorm_mode_32 3
		.amdhsa_float_denorm_mode_16_64 3
		.amdhsa_fp16_overflow 0
		.amdhsa_memory_ordered 1
		.amdhsa_forward_progress 1
		.amdhsa_inst_pref_size 4
		.amdhsa_round_robin_scheduling 0
		.amdhsa_exception_fp_ieee_invalid_op 0
		.amdhsa_exception_fp_denorm_src 0
		.amdhsa_exception_fp_ieee_div_zero 0
		.amdhsa_exception_fp_ieee_overflow 0
		.amdhsa_exception_fp_ieee_underflow 0
		.amdhsa_exception_fp_ieee_inexact 0
		.amdhsa_exception_int_div_zero 0
	.end_amdhsa_kernel
	.section	.text._Z11fill_kernelIDF16_Z21hipblaslt_init_deviceIDF16_Ev8ABC_dims24hipblaslt_initializationbPT_mmmmmEUlmE_EvS4_mmT0_,"axG",@progbits,_Z11fill_kernelIDF16_Z21hipblaslt_init_deviceIDF16_Ev8ABC_dims24hipblaslt_initializationbPT_mmmmmEUlmE_EvS4_mmT0_,comdat
.Lfunc_end22:
	.size	_Z11fill_kernelIDF16_Z21hipblaslt_init_deviceIDF16_Ev8ABC_dims24hipblaslt_initializationbPT_mmmmmEUlmE_EvS4_mmT0_, .Lfunc_end22-_Z11fill_kernelIDF16_Z21hipblaslt_init_deviceIDF16_Ev8ABC_dims24hipblaslt_initializationbPT_mmmmmEUlmE_EvS4_mmT0_
                                        ; -- End function
	.set _Z11fill_kernelIDF16_Z21hipblaslt_init_deviceIDF16_Ev8ABC_dims24hipblaslt_initializationbPT_mmmmmEUlmE_EvS4_mmT0_.num_vgpr, 6
	.set _Z11fill_kernelIDF16_Z21hipblaslt_init_deviceIDF16_Ev8ABC_dims24hipblaslt_initializationbPT_mmmmmEUlmE_EvS4_mmT0_.num_agpr, 0
	.set _Z11fill_kernelIDF16_Z21hipblaslt_init_deviceIDF16_Ev8ABC_dims24hipblaslt_initializationbPT_mmmmmEUlmE_EvS4_mmT0_.numbered_sgpr, 10
	.set _Z11fill_kernelIDF16_Z21hipblaslt_init_deviceIDF16_Ev8ABC_dims24hipblaslt_initializationbPT_mmmmmEUlmE_EvS4_mmT0_.num_named_barrier, 0
	.set _Z11fill_kernelIDF16_Z21hipblaslt_init_deviceIDF16_Ev8ABC_dims24hipblaslt_initializationbPT_mmmmmEUlmE_EvS4_mmT0_.private_seg_size, 0
	.set _Z11fill_kernelIDF16_Z21hipblaslt_init_deviceIDF16_Ev8ABC_dims24hipblaslt_initializationbPT_mmmmmEUlmE_EvS4_mmT0_.uses_vcc, 0
	.set _Z11fill_kernelIDF16_Z21hipblaslt_init_deviceIDF16_Ev8ABC_dims24hipblaslt_initializationbPT_mmmmmEUlmE_EvS4_mmT0_.uses_flat_scratch, 0
	.set _Z11fill_kernelIDF16_Z21hipblaslt_init_deviceIDF16_Ev8ABC_dims24hipblaslt_initializationbPT_mmmmmEUlmE_EvS4_mmT0_.has_dyn_sized_stack, 0
	.set _Z11fill_kernelIDF16_Z21hipblaslt_init_deviceIDF16_Ev8ABC_dims24hipblaslt_initializationbPT_mmmmmEUlmE_EvS4_mmT0_.has_recursion, 0
	.set _Z11fill_kernelIDF16_Z21hipblaslt_init_deviceIDF16_Ev8ABC_dims24hipblaslt_initializationbPT_mmmmmEUlmE_EvS4_mmT0_.has_indirect_call, 0
	.section	.AMDGPU.csdata,"",@progbits
; Kernel info:
; codeLenInByte = 396
; TotalNumSgprs: 10
; NumVgprs: 6
; ScratchSize: 0
; MemoryBound: 0
; FloatMode: 240
; IeeeMode: 1
; LDSByteSize: 0 bytes/workgroup (compile time only)
; SGPRBlocks: 0
; VGPRBlocks: 0
; NumSGPRsForWavesPerEU: 10
; NumVGPRsForWavesPerEU: 6
; NamedBarCnt: 0
; Occupancy: 16
; WaveLimiterHint : 0
; COMPUTE_PGM_RSRC2:SCRATCH_EN: 0
; COMPUTE_PGM_RSRC2:USER_SGPR: 2
; COMPUTE_PGM_RSRC2:TRAP_HANDLER: 0
; COMPUTE_PGM_RSRC2:TGID_X_EN: 1
; COMPUTE_PGM_RSRC2:TGID_Y_EN: 0
; COMPUTE_PGM_RSRC2:TGID_Z_EN: 0
; COMPUTE_PGM_RSRC2:TIDIG_COMP_CNT: 0
	.section	.text._Z11fill_kernelIDF16_Z21hipblaslt_init_deviceIDF16_Ev8ABC_dims24hipblaslt_initializationbPT_mmmmmEUlmE0_EvS4_mmT0_,"axG",@progbits,_Z11fill_kernelIDF16_Z21hipblaslt_init_deviceIDF16_Ev8ABC_dims24hipblaslt_initializationbPT_mmmmmEUlmE0_EvS4_mmT0_,comdat
	.protected	_Z11fill_kernelIDF16_Z21hipblaslt_init_deviceIDF16_Ev8ABC_dims24hipblaslt_initializationbPT_mmmmmEUlmE0_EvS4_mmT0_ ; -- Begin function _Z11fill_kernelIDF16_Z21hipblaslt_init_deviceIDF16_Ev8ABC_dims24hipblaslt_initializationbPT_mmmmmEUlmE0_EvS4_mmT0_
	.globl	_Z11fill_kernelIDF16_Z21hipblaslt_init_deviceIDF16_Ev8ABC_dims24hipblaslt_initializationbPT_mmmmmEUlmE0_EvS4_mmT0_
	.p2align	8
	.type	_Z11fill_kernelIDF16_Z21hipblaslt_init_deviceIDF16_Ev8ABC_dims24hipblaslt_initializationbPT_mmmmmEUlmE0_EvS4_mmT0_,@function
_Z11fill_kernelIDF16_Z21hipblaslt_init_deviceIDF16_Ev8ABC_dims24hipblaslt_initializationbPT_mmmmmEUlmE0_EvS4_mmT0_: ; @_Z11fill_kernelIDF16_Z21hipblaslt_init_deviceIDF16_Ev8ABC_dims24hipblaslt_initializationbPT_mmmmmEUlmE0_EvS4_mmT0_
; %bb.0:
	s_clause 0x1
	s_load_b32 s2, s[0:1], 0x2c
	s_load_b128 s[4:7], s[0:1], 0x0
	s_bfe_u32 s3, ttmp6, 0x4000c
	s_and_b32 s8, ttmp6, 15
	s_add_co_i32 s3, s3, 1
	s_getreg_b32 s9, hwreg(HW_REG_IB_STS2, 6, 4)
	s_mul_i32 s3, ttmp9, s3
	v_mov_b32_e32 v1, 0
	s_add_co_i32 s8, s8, s3
	s_wait_kmcnt 0x0
	s_and_b32 s2, s2, 0xffff
	s_cmp_eq_u32 s9, 0
	s_cselect_b32 s3, ttmp9, s8
	s_delay_alu instid0(SALU_CYCLE_1) | instskip(SKIP_1) | instid1(VALU_DEP_1)
	v_mad_u32 v0, s3, s2, v0
	s_mov_b32 s2, exec_lo
	v_cmpx_gt_u64_e64 s[6:7], v[0:1]
	s_cbranch_execz .LBB23_2
; %bb.1:
	s_load_b64 s[0:1], s[0:1], 0x10
	s_wait_kmcnt 0x0
	v_add_nc_u64_e32 v[0:1], s[0:1], v[0:1]
	s_mov_b32 s0, 0x19660d
	s_delay_alu instid0(VALU_DEP_1) | instid1(SALU_CYCLE_1)
	v_mad_nc_u64_u32 v[2:3], v0, s0, 0x3c6ef35f
	s_delay_alu instid0(VALU_DEP_1) | instskip(SKIP_1) | instid1(VALU_DEP_2)
	v_mad_u32 v3, 0x19660d, v1, v3
	v_lshl_add_u64 v[0:1], v[0:1], 1, s[4:5]
	v_lshlrev_b64_e32 v[4:5], 13, v[2:3]
	s_delay_alu instid0(VALU_DEP_1) | instskip(NEXT) | instid1(VALU_DEP_2)
	v_xor_b32_e32 v3, v5, v3
	v_xor_b32_e32 v2, v4, v2
	s_delay_alu instid0(VALU_DEP_1) | instskip(NEXT) | instid1(VALU_DEP_1)
	v_lshrrev_b64 v[4:5], 17, v[2:3]
	v_xor_b32_e32 v3, v5, v3
	s_delay_alu instid0(VALU_DEP_2) | instskip(NEXT) | instid1(VALU_DEP_1)
	v_xor_b32_e32 v2, v4, v2
	v_lshlrev_b64_e32 v[4:5], 5, v[2:3]
	s_delay_alu instid0(VALU_DEP_1) | instskip(NEXT) | instid1(VALU_DEP_2)
	v_xor_b32_e32 v3, v5, v3
	v_xor_b32_e32 v2, v4, v2
	s_delay_alu instid0(VALU_DEP_1) | instskip(NEXT) | instid1(VALU_DEP_1)
	v_lshlrev_b64_e32 v[4:5], 13, v[2:3]
	v_xor_b32_e32 v3, v5, v3
	s_delay_alu instid0(VALU_DEP_2) | instskip(NEXT) | instid1(VALU_DEP_1)
	v_xor_b32_e32 v2, v4, v2
	v_lshrrev_b64 v[4:5], 17, v[2:3]
	s_delay_alu instid0(VALU_DEP_1) | instskip(NEXT) | instid1(VALU_DEP_2)
	v_xor_b32_e32 v3, v5, v3
	v_xor_b32_e32 v2, v4, v2
	s_delay_alu instid0(VALU_DEP_1) | instskip(NEXT) | instid1(VALU_DEP_1)
	v_lshlrev_b64_e32 v[4:5], 5, v[2:3]
	v_xor_b32_e32 v3, v5, v3
	s_delay_alu instid0(VALU_DEP_2) | instskip(NEXT) | instid1(VALU_DEP_1)
	v_xor_b32_e32 v2, v4, v2
	v_lshlrev_b64_e32 v[4:5], 13, v[2:3]
	s_delay_alu instid0(VALU_DEP_1) | instskip(NEXT) | instid1(VALU_DEP_2)
	v_xor_b32_e32 v3, v5, v3
	v_xor_b32_e32 v2, v4, v2
	s_delay_alu instid0(VALU_DEP_1) | instskip(NEXT) | instid1(VALU_DEP_1)
	v_alignbit_b32 v3, v3, v2, 17
	v_xor_b32_e32 v2, v3, v2
	s_delay_alu instid0(VALU_DEP_1) | instskip(NEXT) | instid1(VALU_DEP_1)
	v_lshlrev_b32_e32 v3, 5, v2
	v_xor_b32_e32 v2, v3, v2
	s_delay_alu instid0(VALU_DEP_1) | instskip(NEXT) | instid1(VALU_DEP_1)
	v_mul_hi_u32 v3, 0xcccccccd, v2
	v_lshrrev_b32_e32 v3, 2, v3
	s_delay_alu instid0(VALU_DEP_1) | instskip(NEXT) | instid1(VALU_DEP_1)
	v_lshl_add_u32 v3, v3, 2, v3
	v_sub_nc_u32_e32 v2, v2, v3
	s_delay_alu instid0(VALU_DEP_1) | instskip(NEXT) | instid1(VALU_DEP_1)
	v_add_nc_u32_e32 v2, -2, v2
	v_cvt_f32_i32_e32 v2, v2
	s_delay_alu instid0(VALU_DEP_1)
	v_cvt_f16_f32_e32 v2, v2
	global_store_b16 v[0:1], v2, off
.LBB23_2:
	s_endpgm
	.section	.rodata,"a",@progbits
	.p2align	6, 0x0
	.amdhsa_kernel _Z11fill_kernelIDF16_Z21hipblaslt_init_deviceIDF16_Ev8ABC_dims24hipblaslt_initializationbPT_mmmmmEUlmE0_EvS4_mmT0_
		.amdhsa_group_segment_fixed_size 0
		.amdhsa_private_segment_fixed_size 0
		.amdhsa_kernarg_size 288
		.amdhsa_user_sgpr_count 2
		.amdhsa_user_sgpr_dispatch_ptr 0
		.amdhsa_user_sgpr_queue_ptr 0
		.amdhsa_user_sgpr_kernarg_segment_ptr 1
		.amdhsa_user_sgpr_dispatch_id 0
		.amdhsa_user_sgpr_kernarg_preload_length 0
		.amdhsa_user_sgpr_kernarg_preload_offset 0
		.amdhsa_user_sgpr_private_segment_size 0
		.amdhsa_wavefront_size32 1
		.amdhsa_uses_dynamic_stack 0
		.amdhsa_enable_private_segment 0
		.amdhsa_system_sgpr_workgroup_id_x 1
		.amdhsa_system_sgpr_workgroup_id_y 0
		.amdhsa_system_sgpr_workgroup_id_z 0
		.amdhsa_system_sgpr_workgroup_info 0
		.amdhsa_system_vgpr_workitem_id 0
		.amdhsa_next_free_vgpr 6
		.amdhsa_next_free_sgpr 10
		.amdhsa_named_barrier_count 0
		.amdhsa_reserve_vcc 0
		.amdhsa_float_round_mode_32 0
		.amdhsa_float_round_mode_16_64 0
		.amdhsa_float_denorm_mode_32 3
		.amdhsa_float_denorm_mode_16_64 3
		.amdhsa_fp16_overflow 0
		.amdhsa_memory_ordered 1
		.amdhsa_forward_progress 1
		.amdhsa_inst_pref_size 4
		.amdhsa_round_robin_scheduling 0
		.amdhsa_exception_fp_ieee_invalid_op 0
		.amdhsa_exception_fp_denorm_src 0
		.amdhsa_exception_fp_ieee_div_zero 0
		.amdhsa_exception_fp_ieee_overflow 0
		.amdhsa_exception_fp_ieee_underflow 0
		.amdhsa_exception_fp_ieee_inexact 0
		.amdhsa_exception_int_div_zero 0
	.end_amdhsa_kernel
	.section	.text._Z11fill_kernelIDF16_Z21hipblaslt_init_deviceIDF16_Ev8ABC_dims24hipblaslt_initializationbPT_mmmmmEUlmE0_EvS4_mmT0_,"axG",@progbits,_Z11fill_kernelIDF16_Z21hipblaslt_init_deviceIDF16_Ev8ABC_dims24hipblaslt_initializationbPT_mmmmmEUlmE0_EvS4_mmT0_,comdat
.Lfunc_end23:
	.size	_Z11fill_kernelIDF16_Z21hipblaslt_init_deviceIDF16_Ev8ABC_dims24hipblaslt_initializationbPT_mmmmmEUlmE0_EvS4_mmT0_, .Lfunc_end23-_Z11fill_kernelIDF16_Z21hipblaslt_init_deviceIDF16_Ev8ABC_dims24hipblaslt_initializationbPT_mmmmmEUlmE0_EvS4_mmT0_
                                        ; -- End function
	.set _Z11fill_kernelIDF16_Z21hipblaslt_init_deviceIDF16_Ev8ABC_dims24hipblaslt_initializationbPT_mmmmmEUlmE0_EvS4_mmT0_.num_vgpr, 6
	.set _Z11fill_kernelIDF16_Z21hipblaslt_init_deviceIDF16_Ev8ABC_dims24hipblaslt_initializationbPT_mmmmmEUlmE0_EvS4_mmT0_.num_agpr, 0
	.set _Z11fill_kernelIDF16_Z21hipblaslt_init_deviceIDF16_Ev8ABC_dims24hipblaslt_initializationbPT_mmmmmEUlmE0_EvS4_mmT0_.numbered_sgpr, 10
	.set _Z11fill_kernelIDF16_Z21hipblaslt_init_deviceIDF16_Ev8ABC_dims24hipblaslt_initializationbPT_mmmmmEUlmE0_EvS4_mmT0_.num_named_barrier, 0
	.set _Z11fill_kernelIDF16_Z21hipblaslt_init_deviceIDF16_Ev8ABC_dims24hipblaslt_initializationbPT_mmmmmEUlmE0_EvS4_mmT0_.private_seg_size, 0
	.set _Z11fill_kernelIDF16_Z21hipblaslt_init_deviceIDF16_Ev8ABC_dims24hipblaslt_initializationbPT_mmmmmEUlmE0_EvS4_mmT0_.uses_vcc, 0
	.set _Z11fill_kernelIDF16_Z21hipblaslt_init_deviceIDF16_Ev8ABC_dims24hipblaslt_initializationbPT_mmmmmEUlmE0_EvS4_mmT0_.uses_flat_scratch, 0
	.set _Z11fill_kernelIDF16_Z21hipblaslt_init_deviceIDF16_Ev8ABC_dims24hipblaslt_initializationbPT_mmmmmEUlmE0_EvS4_mmT0_.has_dyn_sized_stack, 0
	.set _Z11fill_kernelIDF16_Z21hipblaslt_init_deviceIDF16_Ev8ABC_dims24hipblaslt_initializationbPT_mmmmmEUlmE0_EvS4_mmT0_.has_recursion, 0
	.set _Z11fill_kernelIDF16_Z21hipblaslt_init_deviceIDF16_Ev8ABC_dims24hipblaslt_initializationbPT_mmmmmEUlmE0_EvS4_mmT0_.has_indirect_call, 0
	.section	.AMDGPU.csdata,"",@progbits
; Kernel info:
; codeLenInByte = 396
; TotalNumSgprs: 10
; NumVgprs: 6
; ScratchSize: 0
; MemoryBound: 0
; FloatMode: 240
; IeeeMode: 1
; LDSByteSize: 0 bytes/workgroup (compile time only)
; SGPRBlocks: 0
; VGPRBlocks: 0
; NumSGPRsForWavesPerEU: 10
; NumVGPRsForWavesPerEU: 6
; NamedBarCnt: 0
; Occupancy: 16
; WaveLimiterHint : 0
; COMPUTE_PGM_RSRC2:SCRATCH_EN: 0
; COMPUTE_PGM_RSRC2:USER_SGPR: 2
; COMPUTE_PGM_RSRC2:TRAP_HANDLER: 0
; COMPUTE_PGM_RSRC2:TGID_X_EN: 1
; COMPUTE_PGM_RSRC2:TGID_Y_EN: 0
; COMPUTE_PGM_RSRC2:TGID_Z_EN: 0
; COMPUTE_PGM_RSRC2:TIDIG_COMP_CNT: 0
	.section	.text._Z11fill_kernelIDF16_Z21hipblaslt_init_deviceIDF16_Ev8ABC_dims24hipblaslt_initializationbPT_mmmmmEUlmE1_EvS4_mmT0_,"axG",@progbits,_Z11fill_kernelIDF16_Z21hipblaslt_init_deviceIDF16_Ev8ABC_dims24hipblaslt_initializationbPT_mmmmmEUlmE1_EvS4_mmT0_,comdat
	.protected	_Z11fill_kernelIDF16_Z21hipblaslt_init_deviceIDF16_Ev8ABC_dims24hipblaslt_initializationbPT_mmmmmEUlmE1_EvS4_mmT0_ ; -- Begin function _Z11fill_kernelIDF16_Z21hipblaslt_init_deviceIDF16_Ev8ABC_dims24hipblaslt_initializationbPT_mmmmmEUlmE1_EvS4_mmT0_
	.globl	_Z11fill_kernelIDF16_Z21hipblaslt_init_deviceIDF16_Ev8ABC_dims24hipblaslt_initializationbPT_mmmmmEUlmE1_EvS4_mmT0_
	.p2align	8
	.type	_Z11fill_kernelIDF16_Z21hipblaslt_init_deviceIDF16_Ev8ABC_dims24hipblaslt_initializationbPT_mmmmmEUlmE1_EvS4_mmT0_,@function
_Z11fill_kernelIDF16_Z21hipblaslt_init_deviceIDF16_Ev8ABC_dims24hipblaslt_initializationbPT_mmmmmEUlmE1_EvS4_mmT0_: ; @_Z11fill_kernelIDF16_Z21hipblaslt_init_deviceIDF16_Ev8ABC_dims24hipblaslt_initializationbPT_mmmmmEUlmE1_EvS4_mmT0_
; %bb.0:
	s_clause 0x1
	s_load_b32 s2, s[0:1], 0x34
	s_load_b128 s[4:7], s[0:1], 0x0
	s_bfe_u32 s3, ttmp6, 0x4000c
	s_and_b32 s8, ttmp6, 15
	s_add_co_i32 s3, s3, 1
	s_getreg_b32 s9, hwreg(HW_REG_IB_STS2, 6, 4)
	s_mul_i32 s3, ttmp9, s3
	v_mov_b32_e32 v3, 0
	s_add_co_i32 s8, s8, s3
	s_wait_kmcnt 0x0
	s_and_b32 s2, s2, 0xffff
	s_cmp_eq_u32 s9, 0
	s_cselect_b32 s3, ttmp9, s8
	s_delay_alu instid0(SALU_CYCLE_1) | instskip(SKIP_1) | instid1(VALU_DEP_1)
	v_mad_u32 v2, s3, s2, v0
	s_mov_b32 s2, exec_lo
	v_cmpx_gt_u64_e64 s[6:7], v[2:3]
	s_cbranch_execz .LBB24_10
; %bb.1:
	s_clause 0x1
	s_load_b64 s[2:3], s[0:1], 0x10
	s_load_b128 s[8:11], s[0:1], 0x18
	s_wait_xcnt 0x0
	s_mov_b32 s0, exec_lo
	v_mov_b32_e32 v4, v3
	s_wait_kmcnt 0x0
	v_add_nc_u64_e32 v[0:1], s[2:3], v[2:3]
                                        ; implicit-def: $vgpr2_vgpr3
	s_delay_alu instid0(VALU_DEP_1) | instskip(NEXT) | instid1(VALU_DEP_1)
	v_or_b32_e32 v5, s9, v1
	v_cmpx_ne_u64_e32 0, v[4:5]
	s_xor_b32 s1, exec_lo, s0
	s_cbranch_execz .LBB24_3
; %bb.2:
	s_cvt_f32_u32 s0, s8
	s_cvt_f32_u32 s2, s9
	s_sub_nc_u64 s[6:7], 0, s[8:9]
	s_mov_b32 s15, 0
	v_dual_mov_b32 v3, 0 :: v_dual_mov_b32 v2, v0
	s_fmamk_f32 s0, s2, 0x4f800000, s0
	s_delay_alu instid0(SALU_CYCLE_3) | instskip(NEXT) | instid1(TRANS32_DEP_1)
	v_s_rcp_f32 s0, s0
	s_mul_f32 s0, s0, 0x5f7ffffc
	s_delay_alu instid0(SALU_CYCLE_3) | instskip(NEXT) | instid1(SALU_CYCLE_3)
	s_mul_f32 s2, s0, 0x2f800000
	s_trunc_f32 s2, s2
	s_delay_alu instid0(SALU_CYCLE_3) | instskip(SKIP_1) | instid1(SALU_CYCLE_2)
	s_fmamk_f32 s0, s2, 0xcf800000, s0
	s_cvt_u32_f32 s3, s2
	s_cvt_u32_f32 s2, s0
	s_delay_alu instid0(SALU_CYCLE_3) | instskip(NEXT) | instid1(SALU_CYCLE_1)
	s_mul_u64 s[12:13], s[6:7], s[2:3]
	s_mul_hi_u32 s17, s2, s13
	s_mul_i32 s16, s2, s13
	s_mul_hi_u32 s14, s2, s12
	s_mul_i32 s18, s3, s12
	s_add_nc_u64 s[16:17], s[14:15], s[16:17]
	s_mul_hi_u32 s0, s3, s12
	s_mul_hi_u32 s19, s3, s13
	s_mul_i32 s12, s3, s13
	s_add_co_u32 s13, s16, s18
	s_add_co_ci_u32 s14, s17, s0
	s_add_co_ci_u32 s13, s19, 0
	s_delay_alu instid0(SALU_CYCLE_1) | instskip(NEXT) | instid1(SALU_CYCLE_1)
	s_add_nc_u64 s[12:13], s[14:15], s[12:13]
	s_add_co_u32 s2, s2, s12
	s_cselect_b32 s0, -1, 0
	s_delay_alu instid0(SALU_CYCLE_1) | instskip(SKIP_1) | instid1(SALU_CYCLE_1)
	s_cmp_lg_u32 s0, 0
	s_add_co_ci_u32 s3, s3, s13
	s_mul_u64 s[6:7], s[6:7], s[2:3]
	s_delay_alu instid0(SALU_CYCLE_1)
	s_mul_hi_u32 s13, s2, s7
	s_mul_i32 s12, s2, s7
	s_mul_hi_u32 s14, s2, s6
	s_mul_i32 s16, s3, s6
	s_add_nc_u64 s[12:13], s[14:15], s[12:13]
	s_mul_hi_u32 s0, s3, s6
	s_mul_hi_u32 s17, s3, s7
	s_mul_i32 s6, s3, s7
	s_add_co_u32 s7, s12, s16
	s_add_co_ci_u32 s14, s13, s0
	s_add_co_ci_u32 s7, s17, 0
	s_delay_alu instid0(SALU_CYCLE_1) | instskip(NEXT) | instid1(SALU_CYCLE_1)
	s_add_nc_u64 s[6:7], s[14:15], s[6:7]
	s_add_co_u32 s0, s2, s6
	s_cselect_b32 s2, -1, 0
	s_delay_alu instid0(SALU_CYCLE_1)
	s_cmp_lg_u32 s2, 0
	s_add_co_ci_u32 s14, s3, s7
	s_mov_b64 s[2:3], 0xffffffff
	v_mul_u64_e32 v[4:5], s[14:15], v[2:3]
	v_mul_hi_u32 v2, v0, s0
	s_and_b64 s[2:3], s[0:1], s[2:3]
	s_delay_alu instid0(VALU_DEP_1) | instskip(SKIP_1) | instid1(VALU_DEP_1)
	v_add_nc_u64_e32 v[4:5], v[2:3], v[4:5]
	v_mov_b32_e32 v2, v1
	v_mul_u64_e32 v[6:7], s[2:3], v[2:3]
	v_mul_u64_e32 v[8:9], s[14:15], v[2:3]
	s_delay_alu instid0(VALU_DEP_2) | instskip(NEXT) | instid1(VALU_DEP_3)
	v_add_co_u32 v2, vcc_lo, v4, v6
	v_add_co_ci_u32_e32 v2, vcc_lo, v5, v7, vcc_lo
	s_delay_alu instid0(VALU_DEP_3) | instskip(NEXT) | instid1(VALU_DEP_1)
	v_add_co_ci_u32_e32 v9, vcc_lo, 0, v9, vcc_lo
	v_add_nc_u64_e32 v[2:3], v[2:3], v[8:9]
	s_delay_alu instid0(VALU_DEP_1) | instskip(NEXT) | instid1(VALU_DEP_1)
	v_mul_u64_e32 v[2:3], s[8:9], v[2:3]
	v_sub_nc_u32_e32 v4, v1, v3
	s_delay_alu instid0(VALU_DEP_2) | instskip(NEXT) | instid1(VALU_DEP_1)
	v_sub_co_u32 v2, vcc_lo, v0, v2
	v_sub_co_ci_u32_e64 v3, null, v1, v3, vcc_lo
	s_delay_alu instid0(VALU_DEP_3) | instskip(NEXT) | instid1(VALU_DEP_3)
	v_subrev_co_ci_u32_e64 v4, null, s9, v4, vcc_lo
	v_sub_co_u32 v5, vcc_lo, v2, s8
	v_cmp_le_u32_e64 s0, s8, v2
	s_delay_alu instid0(VALU_DEP_3) | instskip(SKIP_1) | instid1(VALU_DEP_3)
	v_subrev_co_ci_u32_e64 v6, null, 0, v4, vcc_lo
	v_subrev_co_ci_u32_e64 v4, null, s9, v4, vcc_lo
	v_cndmask_b32_e64 v7, 0, -1, s0
	v_cmp_le_u32_e64 s0, s8, v5
	v_cmp_le_u32_e32 vcc_lo, s9, v3
	s_delay_alu instid0(VALU_DEP_2) | instskip(SKIP_3) | instid1(VALU_DEP_3)
	v_cndmask_b32_e64 v8, 0, -1, s0
	v_cmp_le_u32_e64 s0, s9, v6
	v_cndmask_b32_e64 v10, 0, -1, vcc_lo
	v_cmp_eq_u32_e32 vcc_lo, s9, v6
	v_cndmask_b32_e64 v9, 0, -1, s0
	v_cmp_eq_u32_e64 s0, s9, v3
	s_delay_alu instid0(VALU_DEP_1) | instskip(SKIP_1) | instid1(VALU_DEP_1)
	v_dual_cndmask_b32 v8, v9, v8, vcc_lo :: v_dual_cndmask_b32 v7, v10, v7, s0
	v_sub_co_u32 v9, vcc_lo, v5, s8
	v_subrev_co_ci_u32_e64 v4, null, 0, v4, vcc_lo
	s_delay_alu instid0(VALU_DEP_3) | instskip(NEXT) | instid1(VALU_DEP_2)
	v_cmp_ne_u32_e32 vcc_lo, 0, v8
	v_dual_cndmask_b32 v4, v6, v4 :: v_dual_cndmask_b32 v5, v5, v9
	v_cmp_ne_u32_e32 vcc_lo, 0, v7
	s_delay_alu instid0(VALU_DEP_2)
	v_dual_cndmask_b32 v3, v3, v4 :: v_dual_cndmask_b32 v2, v2, v5
.LBB24_3:
	s_and_not1_saveexec_b32 s0, s1
	s_cbranch_execz .LBB24_5
; %bb.4:
	v_cvt_f32_u32_e32 v2, s8
	s_sub_co_i32 s1, 0, s8
	s_delay_alu instid0(VALU_DEP_1) | instskip(SKIP_1) | instid1(TRANS32_DEP_1)
	v_rcp_iflag_f32_e32 v2, v2
	v_nop
	v_mul_f32_e32 v2, 0x4f7ffffe, v2
	s_delay_alu instid0(VALU_DEP_1) | instskip(NEXT) | instid1(VALU_DEP_1)
	v_cvt_u32_f32_e32 v2, v2
	v_mul_lo_u32 v3, s1, v2
	s_delay_alu instid0(VALU_DEP_1) | instskip(NEXT) | instid1(VALU_DEP_1)
	v_mul_hi_u32 v3, v2, v3
	v_add_nc_u32_e32 v2, v2, v3
	s_delay_alu instid0(VALU_DEP_1) | instskip(NEXT) | instid1(VALU_DEP_1)
	v_mul_hi_u32 v2, v0, v2
	v_mul_lo_u32 v2, v2, s8
	s_delay_alu instid0(VALU_DEP_1) | instskip(NEXT) | instid1(VALU_DEP_1)
	v_sub_nc_u32_e32 v2, v0, v2
	v_subrev_nc_u32_e32 v3, s8, v2
	v_cmp_le_u32_e32 vcc_lo, s8, v2
	s_delay_alu instid0(VALU_DEP_2) | instskip(NEXT) | instid1(VALU_DEP_1)
	v_cndmask_b32_e32 v2, v2, v3, vcc_lo
	v_subrev_nc_u32_e32 v3, s8, v2
	v_cmp_le_u32_e32 vcc_lo, s8, v2
	s_delay_alu instid0(VALU_DEP_2)
	v_dual_cndmask_b32 v2, v2, v3 :: v_dual_mov_b32 v3, 0
.LBB24_5:
	s_or_b32 exec_lo, exec_lo, s0
	s_delay_alu instid0(VALU_DEP_1) | instskip(SKIP_1) | instid1(VALU_DEP_1)
	v_dual_mov_b32 v4, 0 :: v_dual_bitop2_b32 v5, s11, v3 bitop3:0x54
                                        ; implicit-def: $vgpr6_vgpr7
	s_mov_b32 s0, exec_lo
	v_cmpx_ne_u64_e32 0, v[4:5]
	s_xor_b32 s1, exec_lo, s0
	s_cbranch_execz .LBB24_7
; %bb.6:
	s_cvt_f32_u32 s0, s10
	s_cvt_f32_u32 s2, s11
	s_sub_nc_u64 s[6:7], 0, s[10:11]
	s_mov_b32 s13, 0
	v_dual_mov_b32 v6, v2 :: v_dual_mov_b32 v7, v4
	s_fmamk_f32 s0, s2, 0x4f800000, s0
	v_dual_mov_b32 v8, v3 :: v_dual_mov_b32 v9, v4
	v_dual_mov_b32 v13, v4 :: v_dual_mov_b32 v5, v4
	s_delay_alu instid0(SALU_CYCLE_1) | instskip(NEXT) | instid1(TRANS32_DEP_1)
	v_s_rcp_f32 s0, s0
	s_mul_f32 s0, s0, 0x5f7ffffc
	s_delay_alu instid0(SALU_CYCLE_3) | instskip(NEXT) | instid1(SALU_CYCLE_3)
	s_mul_f32 s2, s0, 0x2f800000
	s_trunc_f32 s2, s2
	s_delay_alu instid0(SALU_CYCLE_3) | instskip(SKIP_1) | instid1(SALU_CYCLE_2)
	s_fmamk_f32 s0, s2, 0xcf800000, s0
	s_cvt_u32_f32 s3, s2
	s_cvt_u32_f32 s2, s0
	s_delay_alu instid0(SALU_CYCLE_3) | instskip(NEXT) | instid1(SALU_CYCLE_1)
	s_mul_u64 s[8:9], s[6:7], s[2:3]
	s_mul_hi_u32 s15, s2, s9
	s_mul_i32 s14, s2, s9
	s_mul_hi_u32 s12, s2, s8
	s_mul_i32 s16, s3, s8
	s_add_nc_u64 s[14:15], s[12:13], s[14:15]
	s_mul_hi_u32 s0, s3, s8
	s_mul_hi_u32 s17, s3, s9
	s_mul_i32 s8, s3, s9
	s_add_co_u32 s9, s14, s16
	s_add_co_ci_u32 s12, s15, s0
	s_add_co_ci_u32 s9, s17, 0
	s_delay_alu instid0(SALU_CYCLE_1) | instskip(NEXT) | instid1(SALU_CYCLE_1)
	s_add_nc_u64 s[8:9], s[12:13], s[8:9]
	s_add_co_u32 s2, s2, s8
	s_cselect_b32 s0, -1, 0
	s_delay_alu instid0(SALU_CYCLE_1) | instskip(SKIP_1) | instid1(SALU_CYCLE_1)
	s_cmp_lg_u32 s0, 0
	s_add_co_ci_u32 s3, s3, s9
	s_mul_u64 s[6:7], s[6:7], s[2:3]
	s_delay_alu instid0(SALU_CYCLE_1)
	s_mul_hi_u32 s9, s2, s7
	s_mul_i32 s8, s2, s7
	s_mul_hi_u32 s12, s2, s6
	s_mul_i32 s14, s3, s6
	s_add_nc_u64 s[8:9], s[12:13], s[8:9]
	s_mul_hi_u32 s0, s3, s6
	s_mul_hi_u32 s15, s3, s7
	s_mul_i32 s6, s3, s7
	s_add_co_u32 s7, s8, s14
	s_add_co_ci_u32 s12, s9, s0
	s_add_co_ci_u32 s7, s15, 0
	s_delay_alu instid0(SALU_CYCLE_1) | instskip(NEXT) | instid1(SALU_CYCLE_1)
	s_add_nc_u64 s[6:7], s[12:13], s[6:7]
	s_add_co_u32 s0, s2, s6
	s_cselect_b32 s2, -1, 0
	v_nop
	v_mul_hi_u32 v12, v2, s0
	s_cmp_lg_u32 s2, 0
	s_add_co_ci_u32 s12, s3, s7
	s_mov_b64 s[2:3], 0xffffffff
	v_mul_u64_e32 v[6:7], s[12:13], v[6:7]
	s_and_b64 s[2:3], s[0:1], s[2:3]
	s_delay_alu instid0(SALU_CYCLE_1) | instskip(SKIP_1) | instid1(VALU_DEP_3)
	v_mul_u64_e32 v[10:11], s[2:3], v[8:9]
	v_mul_u64_e32 v[8:9], s[12:13], v[8:9]
	v_add_nc_u64_e32 v[6:7], v[12:13], v[6:7]
	s_delay_alu instid0(VALU_DEP_1) | instskip(NEXT) | instid1(VALU_DEP_2)
	v_add_co_u32 v4, vcc_lo, v6, v10
	v_add_co_ci_u32_e32 v4, vcc_lo, v7, v11, vcc_lo
	s_delay_alu instid0(VALU_DEP_4) | instskip(NEXT) | instid1(VALU_DEP_1)
	v_add_co_ci_u32_e32 v9, vcc_lo, 0, v9, vcc_lo
	v_add_nc_u64_e32 v[4:5], v[4:5], v[8:9]
	s_delay_alu instid0(VALU_DEP_1) | instskip(SKIP_1) | instid1(VALU_DEP_2)
	v_mul_u64_e32 v[6:7], s[10:11], v[4:5]
	v_add_nc_u64_e32 v[8:9], 2, v[4:5]
	v_sub_nc_u32_e32 v10, v3, v7
	s_delay_alu instid0(VALU_DEP_3) | instskip(NEXT) | instid1(VALU_DEP_1)
	v_sub_co_u32 v6, vcc_lo, v2, v6
	v_sub_co_ci_u32_e64 v3, null, v3, v7, vcc_lo
	s_delay_alu instid0(VALU_DEP_3) | instskip(SKIP_1) | instid1(VALU_DEP_4)
	v_subrev_co_ci_u32_e64 v9, null, s11, v10, vcc_lo
	v_add_nc_u64_e32 v[10:11], 1, v[4:5]
	v_sub_co_u32 v5, s0, v6, s10
	s_delay_alu instid0(VALU_DEP_1) | instskip(NEXT) | instid1(VALU_DEP_2)
	v_subrev_co_ci_u32_e64 v9, null, 0, v9, s0
	v_cmp_le_u32_e32 vcc_lo, s10, v5
	v_cndmask_b32_e64 v5, 0, -1, vcc_lo
	s_delay_alu instid0(VALU_DEP_3)
	v_cmp_le_u32_e32 vcc_lo, s11, v9
	v_cndmask_b32_e64 v7, 0, -1, vcc_lo
	v_cmp_le_u32_e32 vcc_lo, s10, v6
	v_cndmask_b32_e64 v6, 0, -1, vcc_lo
	;; [unrolled: 2-line block ×3, first 2 shown]
	v_cmp_eq_u32_e32 vcc_lo, s11, v9
	v_cndmask_b32_e32 v5, v7, v5, vcc_lo
	v_cmp_eq_u32_e32 vcc_lo, s11, v3
	s_delay_alu instid0(VALU_DEP_4) | instskip(NEXT) | instid1(VALU_DEP_3)
	v_cndmask_b32_e32 v3, v11, v6, vcc_lo
	v_cmp_ne_u32_e32 vcc_lo, 0, v5
	v_cndmask_b32_e32 v5, v10, v8, vcc_lo
	s_delay_alu instid0(VALU_DEP_3) | instskip(NEXT) | instid1(VALU_DEP_2)
	v_cmp_ne_u32_e32 vcc_lo, 0, v3
	v_cndmask_b32_e32 v6, v4, v5, vcc_lo
.LBB24_7:
	s_and_not1_saveexec_b32 s0, s1
	s_cbranch_execz .LBB24_9
; %bb.8:
	v_cvt_f32_u32_e32 v3, s10
	s_sub_co_i32 s1, 0, s10
	s_delay_alu instid0(VALU_DEP_1) | instskip(SKIP_1) | instid1(TRANS32_DEP_1)
	v_rcp_iflag_f32_e32 v3, v3
	v_nop
	v_mul_f32_e32 v3, 0x4f7ffffe, v3
	s_delay_alu instid0(VALU_DEP_1) | instskip(NEXT) | instid1(VALU_DEP_1)
	v_cvt_u32_f32_e32 v3, v3
	v_mul_lo_u32 v4, s1, v3
	s_delay_alu instid0(VALU_DEP_1) | instskip(NEXT) | instid1(VALU_DEP_1)
	v_mul_hi_u32 v4, v3, v4
	v_add_nc_u32_e32 v3, v3, v4
	s_delay_alu instid0(VALU_DEP_1) | instskip(NEXT) | instid1(VALU_DEP_1)
	v_mul_hi_u32 v3, v2, v3
	v_mul_lo_u32 v4, v3, s10
	s_delay_alu instid0(VALU_DEP_1) | instskip(NEXT) | instid1(VALU_DEP_1)
	v_dual_add_nc_u32 v5, 1, v3 :: v_dual_sub_nc_u32 v4, v2, v4
	v_subrev_nc_u32_e32 v6, s10, v4
	v_cmp_le_u32_e32 vcc_lo, s10, v4
	s_delay_alu instid0(VALU_DEP_2) | instskip(NEXT) | instid1(VALU_DEP_1)
	v_dual_cndmask_b32 v4, v4, v6 :: v_dual_cndmask_b32 v3, v3, v5
	v_cmp_le_u32_e32 vcc_lo, s10, v4
	s_delay_alu instid0(VALU_DEP_2) | instskip(NEXT) | instid1(VALU_DEP_1)
	v_add_nc_u32_e32 v5, 1, v3
	v_cndmask_b32_e32 v6, v3, v5, vcc_lo
.LBB24_9:
	s_or_b32 exec_lo, exec_lo, s0
	s_mov_b32 s0, 0x19660d
	s_delay_alu instid0(SALU_CYCLE_1) | instskip(NEXT) | instid1(VALU_DEP_1)
	v_mad_nc_u64_u32 v[4:5], v0, s0, 0x3c6ef35f
	v_mad_u32 v5, 0x19660d, v1, v5
	v_lshl_add_u64 v[0:1], v[0:1], 1, s[4:5]
	s_delay_alu instid0(VALU_DEP_2) | instskip(NEXT) | instid1(VALU_DEP_1)
	v_lshlrev_b64_e32 v[8:9], 13, v[4:5]
	v_xor_b32_e32 v5, v9, v5
	s_delay_alu instid0(VALU_DEP_2) | instskip(NEXT) | instid1(VALU_DEP_1)
	v_xor_b32_e32 v4, v8, v4
	v_lshrrev_b64 v[8:9], 17, v[4:5]
	s_delay_alu instid0(VALU_DEP_1) | instskip(NEXT) | instid1(VALU_DEP_2)
	v_xor_b32_e32 v5, v9, v5
	v_xor_b32_e32 v4, v8, v4
	s_delay_alu instid0(VALU_DEP_1) | instskip(NEXT) | instid1(VALU_DEP_1)
	v_lshlrev_b64_e32 v[8:9], 5, v[4:5]
	v_xor_b32_e32 v5, v9, v5
	s_delay_alu instid0(VALU_DEP_2) | instskip(NEXT) | instid1(VALU_DEP_1)
	v_xor_b32_e32 v4, v8, v4
	v_lshlrev_b64_e32 v[8:9], 13, v[4:5]
	s_delay_alu instid0(VALU_DEP_1) | instskip(NEXT) | instid1(VALU_DEP_2)
	v_xor_b32_e32 v5, v9, v5
	v_xor_b32_e32 v4, v8, v4
	s_delay_alu instid0(VALU_DEP_1) | instskip(NEXT) | instid1(VALU_DEP_1)
	v_lshrrev_b64 v[8:9], 17, v[4:5]
	v_xor_b32_e32 v5, v9, v5
	s_delay_alu instid0(VALU_DEP_2) | instskip(NEXT) | instid1(VALU_DEP_1)
	v_xor_b32_e32 v4, v8, v4
	v_lshlrev_b64_e32 v[8:9], 5, v[4:5]
	s_delay_alu instid0(VALU_DEP_1) | instskip(NEXT) | instid1(VALU_DEP_2)
	v_xor_b32_e32 v5, v9, v5
	v_xor_b32_e32 v4, v8, v4
	s_delay_alu instid0(VALU_DEP_1) | instskip(NEXT) | instid1(VALU_DEP_1)
	v_lshlrev_b64_e32 v[8:9], 13, v[4:5]
	v_xor_b32_e32 v3, v9, v5
	s_delay_alu instid0(VALU_DEP_2) | instskip(NEXT) | instid1(VALU_DEP_1)
	v_xor_b32_e32 v4, v8, v4
	v_alignbit_b32 v3, v3, v4, 17
	s_delay_alu instid0(VALU_DEP_1) | instskip(NEXT) | instid1(VALU_DEP_1)
	v_xor_b32_e32 v3, v3, v4
	v_lshlrev_b32_e32 v4, 5, v3
	s_delay_alu instid0(VALU_DEP_1) | instskip(NEXT) | instid1(VALU_DEP_1)
	v_xor_b32_e32 v3, v4, v3
	v_mul_hi_u32 v4, 0xcccccccd, v3
	s_delay_alu instid0(VALU_DEP_1) | instskip(NEXT) | instid1(VALU_DEP_1)
	v_lshrrev_b32_e32 v4, 2, v4
	v_lshl_add_u32 v4, v4, 2, v4
	s_delay_alu instid0(VALU_DEP_1) | instskip(SKIP_1) | instid1(VALU_DEP_2)
	v_sub_nc_u32_e32 v3, v3, v4
	v_mul_lo_u32 v4, v6, s10
	v_add_nc_u32_e32 v3, -2, v3
	s_delay_alu instid0(VALU_DEP_1) | instskip(NEXT) | instid1(VALU_DEP_3)
	v_cvt_f32_i32_e32 v3, v3
	v_sub_nc_u32_e32 v2, v2, v4
	s_delay_alu instid0(VALU_DEP_2) | instskip(NEXT) | instid1(VALU_DEP_2)
	v_cvt_f16_f32_e32 v3, v3
	v_bitop3_b32 v2, v2, 1, v6 bitop3:0x48
	s_delay_alu instid0(VALU_DEP_2) | instskip(NEXT) | instid1(VALU_DEP_2)
	v_xor_b32_e32 v4, 0x8000, v3
	v_cmp_eq_u32_e32 vcc_lo, 0, v2
	s_delay_alu instid0(VALU_DEP_2)
	v_cndmask_b32_e32 v2, v3, v4, vcc_lo
	global_store_b16 v[0:1], v2, off
.LBB24_10:
	s_endpgm
	.section	.rodata,"a",@progbits
	.p2align	6, 0x0
	.amdhsa_kernel _Z11fill_kernelIDF16_Z21hipblaslt_init_deviceIDF16_Ev8ABC_dims24hipblaslt_initializationbPT_mmmmmEUlmE1_EvS4_mmT0_
		.amdhsa_group_segment_fixed_size 0
		.amdhsa_private_segment_fixed_size 0
		.amdhsa_kernarg_size 296
		.amdhsa_user_sgpr_count 2
		.amdhsa_user_sgpr_dispatch_ptr 0
		.amdhsa_user_sgpr_queue_ptr 0
		.amdhsa_user_sgpr_kernarg_segment_ptr 1
		.amdhsa_user_sgpr_dispatch_id 0
		.amdhsa_user_sgpr_kernarg_preload_length 0
		.amdhsa_user_sgpr_kernarg_preload_offset 0
		.amdhsa_user_sgpr_private_segment_size 0
		.amdhsa_wavefront_size32 1
		.amdhsa_uses_dynamic_stack 0
		.amdhsa_enable_private_segment 0
		.amdhsa_system_sgpr_workgroup_id_x 1
		.amdhsa_system_sgpr_workgroup_id_y 0
		.amdhsa_system_sgpr_workgroup_id_z 0
		.amdhsa_system_sgpr_workgroup_info 0
		.amdhsa_system_vgpr_workitem_id 0
		.amdhsa_next_free_vgpr 14
		.amdhsa_next_free_sgpr 20
		.amdhsa_named_barrier_count 0
		.amdhsa_reserve_vcc 1
		.amdhsa_float_round_mode_32 0
		.amdhsa_float_round_mode_16_64 0
		.amdhsa_float_denorm_mode_32 3
		.amdhsa_float_denorm_mode_16_64 3
		.amdhsa_fp16_overflow 0
		.amdhsa_memory_ordered 1
		.amdhsa_forward_progress 1
		.amdhsa_inst_pref_size 15
		.amdhsa_round_robin_scheduling 0
		.amdhsa_exception_fp_ieee_invalid_op 0
		.amdhsa_exception_fp_denorm_src 0
		.amdhsa_exception_fp_ieee_div_zero 0
		.amdhsa_exception_fp_ieee_overflow 0
		.amdhsa_exception_fp_ieee_underflow 0
		.amdhsa_exception_fp_ieee_inexact 0
		.amdhsa_exception_int_div_zero 0
	.end_amdhsa_kernel
	.section	.text._Z11fill_kernelIDF16_Z21hipblaslt_init_deviceIDF16_Ev8ABC_dims24hipblaslt_initializationbPT_mmmmmEUlmE1_EvS4_mmT0_,"axG",@progbits,_Z11fill_kernelIDF16_Z21hipblaslt_init_deviceIDF16_Ev8ABC_dims24hipblaslt_initializationbPT_mmmmmEUlmE1_EvS4_mmT0_,comdat
.Lfunc_end24:
	.size	_Z11fill_kernelIDF16_Z21hipblaslt_init_deviceIDF16_Ev8ABC_dims24hipblaslt_initializationbPT_mmmmmEUlmE1_EvS4_mmT0_, .Lfunc_end24-_Z11fill_kernelIDF16_Z21hipblaslt_init_deviceIDF16_Ev8ABC_dims24hipblaslt_initializationbPT_mmmmmEUlmE1_EvS4_mmT0_
                                        ; -- End function
	.set _Z11fill_kernelIDF16_Z21hipblaslt_init_deviceIDF16_Ev8ABC_dims24hipblaslt_initializationbPT_mmmmmEUlmE1_EvS4_mmT0_.num_vgpr, 14
	.set _Z11fill_kernelIDF16_Z21hipblaslt_init_deviceIDF16_Ev8ABC_dims24hipblaslt_initializationbPT_mmmmmEUlmE1_EvS4_mmT0_.num_agpr, 0
	.set _Z11fill_kernelIDF16_Z21hipblaslt_init_deviceIDF16_Ev8ABC_dims24hipblaslt_initializationbPT_mmmmmEUlmE1_EvS4_mmT0_.numbered_sgpr, 20
	.set _Z11fill_kernelIDF16_Z21hipblaslt_init_deviceIDF16_Ev8ABC_dims24hipblaslt_initializationbPT_mmmmmEUlmE1_EvS4_mmT0_.num_named_barrier, 0
	.set _Z11fill_kernelIDF16_Z21hipblaslt_init_deviceIDF16_Ev8ABC_dims24hipblaslt_initializationbPT_mmmmmEUlmE1_EvS4_mmT0_.private_seg_size, 0
	.set _Z11fill_kernelIDF16_Z21hipblaslt_init_deviceIDF16_Ev8ABC_dims24hipblaslt_initializationbPT_mmmmmEUlmE1_EvS4_mmT0_.uses_vcc, 1
	.set _Z11fill_kernelIDF16_Z21hipblaslt_init_deviceIDF16_Ev8ABC_dims24hipblaslt_initializationbPT_mmmmmEUlmE1_EvS4_mmT0_.uses_flat_scratch, 0
	.set _Z11fill_kernelIDF16_Z21hipblaslt_init_deviceIDF16_Ev8ABC_dims24hipblaslt_initializationbPT_mmmmmEUlmE1_EvS4_mmT0_.has_dyn_sized_stack, 0
	.set _Z11fill_kernelIDF16_Z21hipblaslt_init_deviceIDF16_Ev8ABC_dims24hipblaslt_initializationbPT_mmmmmEUlmE1_EvS4_mmT0_.has_recursion, 0
	.set _Z11fill_kernelIDF16_Z21hipblaslt_init_deviceIDF16_Ev8ABC_dims24hipblaslt_initializationbPT_mmmmmEUlmE1_EvS4_mmT0_.has_indirect_call, 0
	.section	.AMDGPU.csdata,"",@progbits
; Kernel info:
; codeLenInByte = 1828
; TotalNumSgprs: 22
; NumVgprs: 14
; ScratchSize: 0
; MemoryBound: 0
; FloatMode: 240
; IeeeMode: 1
; LDSByteSize: 0 bytes/workgroup (compile time only)
; SGPRBlocks: 0
; VGPRBlocks: 0
; NumSGPRsForWavesPerEU: 22
; NumVGPRsForWavesPerEU: 14
; NamedBarCnt: 0
; Occupancy: 16
; WaveLimiterHint : 0
; COMPUTE_PGM_RSRC2:SCRATCH_EN: 0
; COMPUTE_PGM_RSRC2:USER_SGPR: 2
; COMPUTE_PGM_RSRC2:TRAP_HANDLER: 0
; COMPUTE_PGM_RSRC2:TGID_X_EN: 1
; COMPUTE_PGM_RSRC2:TGID_Y_EN: 0
; COMPUTE_PGM_RSRC2:TGID_Z_EN: 0
; COMPUTE_PGM_RSRC2:TIDIG_COMP_CNT: 0
	.section	.text._Z11fill_kernelIDF16_Z21hipblaslt_init_deviceIDF16_Ev8ABC_dims24hipblaslt_initializationbPT_mmmmmEUlmE2_EvS4_mmT0_,"axG",@progbits,_Z11fill_kernelIDF16_Z21hipblaslt_init_deviceIDF16_Ev8ABC_dims24hipblaslt_initializationbPT_mmmmmEUlmE2_EvS4_mmT0_,comdat
	.protected	_Z11fill_kernelIDF16_Z21hipblaslt_init_deviceIDF16_Ev8ABC_dims24hipblaslt_initializationbPT_mmmmmEUlmE2_EvS4_mmT0_ ; -- Begin function _Z11fill_kernelIDF16_Z21hipblaslt_init_deviceIDF16_Ev8ABC_dims24hipblaslt_initializationbPT_mmmmmEUlmE2_EvS4_mmT0_
	.globl	_Z11fill_kernelIDF16_Z21hipblaslt_init_deviceIDF16_Ev8ABC_dims24hipblaslt_initializationbPT_mmmmmEUlmE2_EvS4_mmT0_
	.p2align	8
	.type	_Z11fill_kernelIDF16_Z21hipblaslt_init_deviceIDF16_Ev8ABC_dims24hipblaslt_initializationbPT_mmmmmEUlmE2_EvS4_mmT0_,@function
_Z11fill_kernelIDF16_Z21hipblaslt_init_deviceIDF16_Ev8ABC_dims24hipblaslt_initializationbPT_mmmmmEUlmE2_EvS4_mmT0_: ; @_Z11fill_kernelIDF16_Z21hipblaslt_init_deviceIDF16_Ev8ABC_dims24hipblaslt_initializationbPT_mmmmmEUlmE2_EvS4_mmT0_
; %bb.0:
	s_clause 0x1
	s_load_b32 s2, s[0:1], 0x44
	s_load_b128 s[12:15], s[0:1], 0x0
	s_bfe_u32 s3, ttmp6, 0x4000c
	s_and_b32 s4, ttmp6, 15
	s_add_co_i32 s3, s3, 1
	s_getreg_b32 s5, hwreg(HW_REG_IB_STS2, 6, 4)
	s_mul_i32 s3, ttmp9, s3
	v_mov_b32_e32 v3, 0
	s_add_co_i32 s4, s4, s3
	s_wait_kmcnt 0x0
	s_and_b32 s2, s2, 0xffff
	s_cmp_eq_u32 s5, 0
	s_cselect_b32 s3, ttmp9, s4
	s_delay_alu instid0(SALU_CYCLE_1) | instskip(SKIP_1) | instid1(VALU_DEP_1)
	v_mad_u32 v2, s3, s2, v0
	s_mov_b32 s2, exec_lo
	v_cmpx_gt_u64_e64 s[14:15], v[2:3]
	s_cbranch_execz .LBB25_14
; %bb.1:
	s_clause 0x1
	s_load_b64 s[2:3], s[0:1], 0x10
	s_load_b256 s[4:11], s[0:1], 0x18
	s_wait_xcnt 0x0
	s_mov_b32 s0, exec_lo
	v_mov_b32_e32 v4, v3
	s_wait_kmcnt 0x0
	v_add_nc_u64_e32 v[0:1], s[2:3], v[2:3]
                                        ; implicit-def: $vgpr2_vgpr3
	s_delay_alu instid0(VALU_DEP_1) | instskip(NEXT) | instid1(VALU_DEP_1)
	v_or_b32_e32 v5, s9, v1
	v_cmpx_ne_u64_e32 0, v[4:5]
	s_xor_b32 s1, exec_lo, s0
	s_cbranch_execz .LBB25_3
; %bb.2:
	s_cvt_f32_u32 s0, s8
	s_cvt_f32_u32 s2, s9
	s_sub_nc_u64 s[14:15], 0, s[8:9]
	s_mov_b32 s19, 0
	v_dual_mov_b32 v3, 0 :: v_dual_mov_b32 v2, v0
	s_fmamk_f32 s0, s2, 0x4f800000, s0
	s_delay_alu instid0(SALU_CYCLE_3) | instskip(NEXT) | instid1(TRANS32_DEP_1)
	v_s_rcp_f32 s0, s0
	s_mul_f32 s0, s0, 0x5f7ffffc
	s_delay_alu instid0(SALU_CYCLE_3) | instskip(NEXT) | instid1(SALU_CYCLE_3)
	s_mul_f32 s2, s0, 0x2f800000
	s_trunc_f32 s2, s2
	s_delay_alu instid0(SALU_CYCLE_3) | instskip(SKIP_1) | instid1(SALU_CYCLE_2)
	s_fmamk_f32 s0, s2, 0xcf800000, s0
	s_cvt_u32_f32 s3, s2
	s_cvt_u32_f32 s2, s0
	s_delay_alu instid0(SALU_CYCLE_3) | instskip(NEXT) | instid1(SALU_CYCLE_1)
	s_mul_u64 s[16:17], s[14:15], s[2:3]
	s_mul_hi_u32 s21, s2, s17
	s_mul_i32 s20, s2, s17
	s_mul_hi_u32 s18, s2, s16
	s_mul_i32 s22, s3, s16
	s_add_nc_u64 s[20:21], s[18:19], s[20:21]
	s_mul_hi_u32 s0, s3, s16
	s_mul_hi_u32 s23, s3, s17
	s_mul_i32 s16, s3, s17
	s_add_co_u32 s17, s20, s22
	s_add_co_ci_u32 s18, s21, s0
	s_add_co_ci_u32 s17, s23, 0
	s_delay_alu instid0(SALU_CYCLE_1) | instskip(NEXT) | instid1(SALU_CYCLE_1)
	s_add_nc_u64 s[16:17], s[18:19], s[16:17]
	s_add_co_u32 s2, s2, s16
	s_cselect_b32 s0, -1, 0
	s_delay_alu instid0(SALU_CYCLE_1) | instskip(SKIP_1) | instid1(SALU_CYCLE_1)
	s_cmp_lg_u32 s0, 0
	s_add_co_ci_u32 s3, s3, s17
	s_mul_u64 s[14:15], s[14:15], s[2:3]
	s_delay_alu instid0(SALU_CYCLE_1)
	s_mul_hi_u32 s17, s2, s15
	s_mul_i32 s16, s2, s15
	s_mul_hi_u32 s18, s2, s14
	s_mul_i32 s20, s3, s14
	s_add_nc_u64 s[16:17], s[18:19], s[16:17]
	s_mul_hi_u32 s0, s3, s14
	s_mul_hi_u32 s21, s3, s15
	s_mul_i32 s14, s3, s15
	s_add_co_u32 s15, s16, s20
	s_add_co_ci_u32 s18, s17, s0
	s_add_co_ci_u32 s15, s21, 0
	s_delay_alu instid0(SALU_CYCLE_1) | instskip(NEXT) | instid1(SALU_CYCLE_1)
	s_add_nc_u64 s[14:15], s[18:19], s[14:15]
	s_add_co_u32 s0, s2, s14
	s_cselect_b32 s2, -1, 0
	s_delay_alu instid0(SALU_CYCLE_1)
	s_cmp_lg_u32 s2, 0
	s_add_co_ci_u32 s18, s3, s15
	s_mov_b64 s[2:3], 0xffffffff
	v_mul_u64_e32 v[4:5], s[18:19], v[2:3]
	v_mul_hi_u32 v2, v0, s0
	s_and_b64 s[2:3], s[0:1], s[2:3]
	s_delay_alu instid0(VALU_DEP_1) | instskip(SKIP_1) | instid1(VALU_DEP_1)
	v_add_nc_u64_e32 v[4:5], v[2:3], v[4:5]
	v_mov_b32_e32 v2, v1
	v_mul_u64_e32 v[6:7], s[2:3], v[2:3]
	v_mul_u64_e32 v[8:9], s[18:19], v[2:3]
	s_delay_alu instid0(VALU_DEP_2) | instskip(NEXT) | instid1(VALU_DEP_3)
	v_add_co_u32 v2, vcc_lo, v4, v6
	v_add_co_ci_u32_e32 v2, vcc_lo, v5, v7, vcc_lo
	s_delay_alu instid0(VALU_DEP_3) | instskip(NEXT) | instid1(VALU_DEP_1)
	v_add_co_ci_u32_e32 v9, vcc_lo, 0, v9, vcc_lo
	v_add_nc_u64_e32 v[2:3], v[2:3], v[8:9]
	s_delay_alu instid0(VALU_DEP_1) | instskip(NEXT) | instid1(VALU_DEP_1)
	v_mul_u64_e32 v[4:5], s[8:9], v[2:3]
	v_sub_nc_u32_e32 v6, v1, v5
	s_delay_alu instid0(VALU_DEP_2) | instskip(NEXT) | instid1(VALU_DEP_1)
	v_sub_co_u32 v4, vcc_lo, v0, v4
	v_sub_co_ci_u32_e64 v11, null, v1, v5, vcc_lo
	s_delay_alu instid0(VALU_DEP_3) | instskip(NEXT) | instid1(VALU_DEP_3)
	v_subrev_co_ci_u32_e64 v6, null, s9, v6, vcc_lo
	v_sub_co_u32 v8, s0, v4, s8
	v_cmp_le_u32_e32 vcc_lo, s8, v4
	s_delay_alu instid0(VALU_DEP_3) | instskip(NEXT) | instid1(VALU_DEP_3)
	v_subrev_co_ci_u32_e64 v9, null, 0, v6, s0
	v_cmp_le_u32_e64 s0, s8, v8
	v_add_nc_u64_e32 v[6:7], 2, v[2:3]
	v_cndmask_b32_e64 v12, 0, -1, vcc_lo
	s_delay_alu instid0(VALU_DEP_4) | instskip(SKIP_3) | instid1(VALU_DEP_1)
	v_cmp_eq_u32_e32 vcc_lo, s9, v9
	v_add_nc_u64_e32 v[4:5], 1, v[2:3]
	v_cndmask_b32_e64 v8, 0, -1, s0
	v_cmp_le_u32_e64 s0, s9, v9
	v_cndmask_b32_e64 v10, 0, -1, s0
	v_cmp_eq_u32_e64 s0, s9, v11
	s_delay_alu instid0(VALU_DEP_2) | instskip(SKIP_2) | instid1(VALU_DEP_3)
	v_cndmask_b32_e32 v8, v10, v8, vcc_lo
	v_cmp_le_u32_e32 vcc_lo, s9, v11
	v_cndmask_b32_e64 v9, 0, -1, vcc_lo
	v_cmp_ne_u32_e32 vcc_lo, 0, v8
	s_delay_alu instid0(VALU_DEP_2) | instskip(SKIP_1) | instid1(VALU_DEP_2)
	v_dual_cndmask_b32 v8, v9, v12, s0 :: v_dual_cndmask_b32 v4, v4, v6, vcc_lo
	v_cndmask_b32_e32 v5, v5, v7, vcc_lo
	v_cmp_ne_u32_e32 vcc_lo, 0, v8
	s_delay_alu instid0(VALU_DEP_2)
	v_dual_cndmask_b32 v3, v3, v5 :: v_dual_cndmask_b32 v2, v2, v4
.LBB25_3:
	s_and_not1_saveexec_b32 s0, s1
	s_cbranch_execz .LBB25_5
; %bb.4:
	v_cvt_f32_u32_e32 v2, s8
	s_sub_co_i32 s1, 0, s8
	s_delay_alu instid0(VALU_DEP_1) | instskip(SKIP_1) | instid1(TRANS32_DEP_1)
	v_rcp_iflag_f32_e32 v2, v2
	v_nop
	v_mul_f32_e32 v2, 0x4f7ffffe, v2
	s_delay_alu instid0(VALU_DEP_1) | instskip(NEXT) | instid1(VALU_DEP_1)
	v_cvt_u32_f32_e32 v2, v2
	v_mul_lo_u32 v3, s1, v2
	s_delay_alu instid0(VALU_DEP_1) | instskip(NEXT) | instid1(VALU_DEP_1)
	v_mul_hi_u32 v3, v2, v3
	v_add_nc_u32_e32 v2, v2, v3
	s_delay_alu instid0(VALU_DEP_1) | instskip(NEXT) | instid1(VALU_DEP_1)
	v_mul_hi_u32 v2, v0, v2
	v_mul_lo_u32 v3, v2, s8
	s_delay_alu instid0(VALU_DEP_1) | instskip(NEXT) | instid1(VALU_DEP_1)
	v_dual_add_nc_u32 v4, 1, v2 :: v_dual_sub_nc_u32 v3, v0, v3
	v_subrev_nc_u32_e32 v5, s8, v3
	v_cmp_le_u32_e32 vcc_lo, s8, v3
	s_delay_alu instid0(VALU_DEP_2) | instskip(NEXT) | instid1(VALU_DEP_1)
	v_dual_cndmask_b32 v3, v3, v5 :: v_dual_cndmask_b32 v2, v2, v4
	v_cmp_le_u32_e32 vcc_lo, s8, v3
	s_delay_alu instid0(VALU_DEP_2) | instskip(NEXT) | instid1(VALU_DEP_1)
	v_dual_mov_b32 v3, 0 :: v_dual_add_nc_u32 v4, 1, v2
	v_cndmask_b32_e32 v2, v2, v4, vcc_lo
.LBB25_5:
	s_or_b32 exec_lo, exec_lo, s0
	s_delay_alu instid0(VALU_DEP_1) | instskip(SKIP_2) | instid1(VALU_DEP_2)
	v_mul_u64_e32 v[4:5], s[8:9], v[2:3]
                                        ; implicit-def: $vgpr8_vgpr9
	s_mov_b32 s0, exec_lo
	v_mov_b32_e32 v6, 0
	v_sub_nc_u64_e32 v[4:5], v[0:1], v[4:5]
	s_delay_alu instid0(VALU_DEP_1) | instskip(NEXT) | instid1(VALU_DEP_1)
	v_or_b32_e32 v7, s11, v5
	v_cmpx_ne_u64_e32 0, v[6:7]
	s_xor_b32 s1, exec_lo, s0
	s_cbranch_execz .LBB25_7
; %bb.6:
	s_cvt_f32_u32 s0, s10
	s_cvt_f32_u32 s2, s11
	s_sub_nc_u64 s[8:9], 0, s[10:11]
	s_mov_b32 s17, 0
	v_dual_mov_b32 v8, v4 :: v_dual_mov_b32 v9, v6
	s_fmamk_f32 s0, s2, 0x4f800000, s0
	v_dual_mov_b32 v10, v5 :: v_dual_mov_b32 v11, v6
	v_dual_mov_b32 v15, v6 :: v_dual_mov_b32 v7, v6
	s_delay_alu instid0(SALU_CYCLE_1) | instskip(NEXT) | instid1(TRANS32_DEP_1)
	v_s_rcp_f32 s0, s0
	s_mul_f32 s0, s0, 0x5f7ffffc
	s_delay_alu instid0(SALU_CYCLE_3) | instskip(NEXT) | instid1(SALU_CYCLE_3)
	s_mul_f32 s2, s0, 0x2f800000
	s_trunc_f32 s2, s2
	s_delay_alu instid0(SALU_CYCLE_3) | instskip(SKIP_1) | instid1(SALU_CYCLE_2)
	s_fmamk_f32 s0, s2, 0xcf800000, s0
	s_cvt_u32_f32 s3, s2
	s_cvt_u32_f32 s2, s0
	s_delay_alu instid0(SALU_CYCLE_3) | instskip(NEXT) | instid1(SALU_CYCLE_1)
	s_mul_u64 s[14:15], s[8:9], s[2:3]
	s_mul_hi_u32 s19, s2, s15
	s_mul_i32 s18, s2, s15
	s_mul_hi_u32 s16, s2, s14
	s_mul_i32 s20, s3, s14
	s_add_nc_u64 s[18:19], s[16:17], s[18:19]
	s_mul_hi_u32 s0, s3, s14
	s_mul_hi_u32 s21, s3, s15
	s_mul_i32 s14, s3, s15
	s_add_co_u32 s15, s18, s20
	s_add_co_ci_u32 s16, s19, s0
	s_add_co_ci_u32 s15, s21, 0
	s_delay_alu instid0(SALU_CYCLE_1) | instskip(NEXT) | instid1(SALU_CYCLE_1)
	s_add_nc_u64 s[14:15], s[16:17], s[14:15]
	s_add_co_u32 s2, s2, s14
	s_cselect_b32 s0, -1, 0
	s_delay_alu instid0(SALU_CYCLE_1) | instskip(SKIP_1) | instid1(SALU_CYCLE_1)
	s_cmp_lg_u32 s0, 0
	s_add_co_ci_u32 s3, s3, s15
	s_mul_u64 s[8:9], s[8:9], s[2:3]
	s_delay_alu instid0(SALU_CYCLE_1)
	s_mul_hi_u32 s15, s2, s9
	s_mul_i32 s14, s2, s9
	s_mul_hi_u32 s16, s2, s8
	s_mul_i32 s18, s3, s8
	s_add_nc_u64 s[14:15], s[16:17], s[14:15]
	s_mul_hi_u32 s0, s3, s8
	s_mul_hi_u32 s19, s3, s9
	s_mul_i32 s8, s3, s9
	s_add_co_u32 s9, s14, s18
	s_add_co_ci_u32 s16, s15, s0
	s_add_co_ci_u32 s9, s19, 0
	s_delay_alu instid0(SALU_CYCLE_1) | instskip(NEXT) | instid1(SALU_CYCLE_1)
	s_add_nc_u64 s[8:9], s[16:17], s[8:9]
	s_add_co_u32 s0, s2, s8
	s_cselect_b32 s2, -1, 0
	v_nop
	v_mul_hi_u32 v14, v4, s0
	s_cmp_lg_u32 s2, 0
	s_add_co_ci_u32 s16, s3, s9
	s_mov_b64 s[2:3], 0xffffffff
	v_mul_u64_e32 v[8:9], s[16:17], v[8:9]
	s_and_b64 s[2:3], s[0:1], s[2:3]
	s_delay_alu instid0(SALU_CYCLE_1) | instskip(SKIP_1) | instid1(VALU_DEP_3)
	v_mul_u64_e32 v[12:13], s[2:3], v[10:11]
	v_mul_u64_e32 v[10:11], s[16:17], v[10:11]
	v_add_nc_u64_e32 v[8:9], v[14:15], v[8:9]
	s_delay_alu instid0(VALU_DEP_1) | instskip(NEXT) | instid1(VALU_DEP_2)
	v_add_co_u32 v6, vcc_lo, v8, v12
	v_add_co_ci_u32_e32 v6, vcc_lo, v9, v13, vcc_lo
	s_delay_alu instid0(VALU_DEP_4) | instskip(NEXT) | instid1(VALU_DEP_1)
	v_add_co_ci_u32_e32 v11, vcc_lo, 0, v11, vcc_lo
	v_add_nc_u64_e32 v[6:7], v[6:7], v[10:11]
	s_delay_alu instid0(VALU_DEP_1) | instskip(NEXT) | instid1(VALU_DEP_1)
	v_mul_u64_e32 v[8:9], s[10:11], v[6:7]
	v_sub_nc_u32_e32 v10, v5, v9
	s_delay_alu instid0(VALU_DEP_2) | instskip(NEXT) | instid1(VALU_DEP_1)
	v_sub_co_u32 v8, vcc_lo, v4, v8
	v_sub_co_ci_u32_e64 v15, null, v5, v9, vcc_lo
	s_delay_alu instid0(VALU_DEP_3) | instskip(NEXT) | instid1(VALU_DEP_3)
	v_subrev_co_ci_u32_e64 v10, null, s11, v10, vcc_lo
	v_sub_co_u32 v12, s0, v8, s10
	v_cmp_le_u32_e32 vcc_lo, s10, v8
	s_delay_alu instid0(VALU_DEP_3) | instskip(NEXT) | instid1(VALU_DEP_3)
	v_subrev_co_ci_u32_e64 v13, null, 0, v10, s0
	v_cmp_le_u32_e64 s0, s10, v12
	v_add_nc_u64_e32 v[10:11], 2, v[6:7]
	v_cndmask_b32_e64 v16, 0, -1, vcc_lo
	s_delay_alu instid0(VALU_DEP_4) | instskip(SKIP_3) | instid1(VALU_DEP_1)
	v_cmp_eq_u32_e32 vcc_lo, s11, v13
	v_add_nc_u64_e32 v[8:9], 1, v[6:7]
	v_cndmask_b32_e64 v12, 0, -1, s0
	v_cmp_le_u32_e64 s0, s11, v13
	v_cndmask_b32_e64 v14, 0, -1, s0
	v_cmp_eq_u32_e64 s0, s11, v15
	s_delay_alu instid0(VALU_DEP_2) | instskip(SKIP_2) | instid1(VALU_DEP_3)
	v_cndmask_b32_e32 v12, v14, v12, vcc_lo
	v_cmp_le_u32_e32 vcc_lo, s11, v15
	v_cndmask_b32_e64 v13, 0, -1, vcc_lo
	v_cmp_ne_u32_e32 vcc_lo, 0, v12
	s_delay_alu instid0(VALU_DEP_2) | instskip(SKIP_1) | instid1(VALU_DEP_2)
	v_dual_cndmask_b32 v12, v13, v16, s0 :: v_dual_cndmask_b32 v8, v8, v10, vcc_lo
	v_cndmask_b32_e32 v9, v9, v11, vcc_lo
	v_cmp_ne_u32_e32 vcc_lo, 0, v12
	s_delay_alu instid0(VALU_DEP_2)
	v_dual_cndmask_b32 v8, v6, v8 :: v_dual_cndmask_b32 v9, v7, v9
.LBB25_7:
	s_and_not1_saveexec_b32 s0, s1
	s_cbranch_execz .LBB25_9
; %bb.8:
	v_cvt_f32_u32_e32 v6, s10
	s_sub_co_i32 s1, 0, s10
	s_delay_alu instid0(VALU_DEP_1) | instskip(SKIP_1) | instid1(TRANS32_DEP_1)
	v_rcp_iflag_f32_e32 v6, v6
	v_nop
	v_mul_f32_e32 v6, 0x4f7ffffe, v6
	s_delay_alu instid0(VALU_DEP_1) | instskip(NEXT) | instid1(VALU_DEP_1)
	v_cvt_u32_f32_e32 v6, v6
	v_mul_lo_u32 v7, s1, v6
	s_delay_alu instid0(VALU_DEP_1) | instskip(NEXT) | instid1(VALU_DEP_1)
	v_mul_hi_u32 v7, v6, v7
	v_add_nc_u32_e32 v6, v6, v7
	s_delay_alu instid0(VALU_DEP_1) | instskip(NEXT) | instid1(VALU_DEP_1)
	v_mul_hi_u32 v6, v4, v6
	v_mul_lo_u32 v7, v6, s10
	s_delay_alu instid0(VALU_DEP_1) | instskip(NEXT) | instid1(VALU_DEP_1)
	v_dual_add_nc_u32 v8, 1, v6 :: v_dual_sub_nc_u32 v7, v4, v7
	v_subrev_nc_u32_e32 v9, s10, v7
	v_cmp_le_u32_e32 vcc_lo, s10, v7
	s_delay_alu instid0(VALU_DEP_2) | instskip(NEXT) | instid1(VALU_DEP_4)
	v_dual_cndmask_b32 v7, v7, v9, vcc_lo :: v_dual_mov_b32 v9, 0
	v_cndmask_b32_e32 v6, v6, v8, vcc_lo
	s_delay_alu instid0(VALU_DEP_2) | instskip(NEXT) | instid1(VALU_DEP_2)
	v_cmp_le_u32_e32 vcc_lo, s10, v7
	v_add_nc_u32_e32 v8, 1, v6
	s_delay_alu instid0(VALU_DEP_1)
	v_cndmask_b32_e32 v8, v6, v8, vcc_lo
.LBB25_9:
	s_or_b32 exec_lo, exec_lo, s0
	s_delay_alu instid0(VALU_DEP_1) | instskip(SKIP_1) | instid1(VALU_DEP_1)
	v_mul_u64_e32 v[6:7], s[10:11], v[8:9]
	v_mad_nc_u64_u32 v[8:9], v2, s6, v[8:9]
	v_mad_u32 v3, v3, s6, v9
	s_delay_alu instid0(VALU_DEP_1) | instskip(NEXT) | instid1(VALU_DEP_4)
	v_mad_u32 v2, v2, s7, v3
	v_sub_nc_u64_e32 v[4:5], v[4:5], v[6:7]
	s_delay_alu instid0(VALU_DEP_1) | instskip(NEXT) | instid1(VALU_DEP_1)
	v_mad_nc_u64_u32 v[4:5], v8, s4, v[4:5]
	v_mad_u32 v2, v2, s4, v5
	s_delay_alu instid0(VALU_DEP_2) | instskip(NEXT) | instid1(VALU_DEP_2)
	v_cvt_f64_u32_e32 v[6:7], v4
	v_mad_u32 v5, v8, s5, v2
                                        ; implicit-def: $vgpr8
	s_delay_alu instid0(VALU_DEP_1) | instskip(SKIP_1) | instid1(VALU_DEP_2)
	v_cvt_f64_u32_e32 v[2:3], v5
	v_cmp_lt_u64_e32 vcc_lo, 0x3fffffff, v[4:5]
                                        ; implicit-def: $vgpr4_vgpr5
	v_ldexp_f64 v[2:3], v[2:3], 32
	s_delay_alu instid0(VALU_DEP_1) | instskip(SKIP_1) | instid1(SALU_CYCLE_1)
	v_add_f64_e32 v[2:3], v[2:3], v[6:7]
                                        ; implicit-def: $vgpr6_vgpr7
	s_and_saveexec_b32 s0, vcc_lo
	s_xor_b32 s0, exec_lo, s0
	s_cbranch_execz .LBB25_11
; %bb.10:
	s_delay_alu instid0(VALU_DEP_1) | instskip(SKIP_3) | instid1(VALU_DEP_3)
	v_trig_preop_f64 v[4:5], v[2:3], 0
	v_trig_preop_f64 v[6:7], v[2:3], 1
	;; [unrolled: 1-line block ×3, first 2 shown]
	s_mov_b64 s[2:3], 0x3ff921fb54442d18
	v_dual_mul_f64 v[8:9], v[4:5], v[2:3] :: v_dual_mov_b32 v24, 0
	s_delay_alu instid0(VALU_DEP_3) | instskip(NEXT) | instid1(VALU_DEP_3)
	v_mul_f64_e32 v[10:11], v[6:7], v[2:3]
	v_mul_f64_e32 v[22:23], v[16:17], v[2:3]
	s_delay_alu instid0(VALU_DEP_3) | instskip(NEXT) | instid1(VALU_DEP_3)
	v_fma_f64 v[4:5], v[4:5], v[2:3], -v[8:9]
	v_fma_f64 v[6:7], v[6:7], v[2:3], -v[10:11]
	s_delay_alu instid0(VALU_DEP_3) | instskip(NEXT) | instid1(VALU_DEP_3)
	v_fma_f64 v[16:17], v[16:17], v[2:3], -v[22:23]
	v_add_f64_e32 v[12:13], v[10:11], v[4:5]
	s_delay_alu instid0(VALU_DEP_1) | instskip(SKIP_1) | instid1(VALU_DEP_2)
	v_add_f64_e64 v[14:15], v[12:13], -v[10:11]
	v_add_f64_e32 v[20:21], v[8:9], v[12:13]
	v_add_f64_e64 v[18:19], v[12:13], -v[14:15]
	v_add_f64_e64 v[4:5], v[4:5], -v[14:15]
	s_delay_alu instid0(VALU_DEP_3) | instskip(NEXT) | instid1(VALU_DEP_3)
	v_ldexp_f64 v[14:15], v[20:21], -2
	v_add_f64_e64 v[10:11], v[10:11], -v[18:19]
	v_add_f64_e32 v[18:19], v[22:23], v[6:7]
	s_delay_alu instid0(VALU_DEP_3) | instskip(NEXT) | instid1(VALU_DEP_3)
	v_cmp_neq_f64_e64 vcc_lo, 0x7ff00000, |v[14:15]|
	v_add_f64_e32 v[4:5], v[4:5], v[10:11]
	v_fract_f64_e32 v[10:11], v[14:15]
	s_delay_alu instid0(VALU_DEP_1) | instskip(NEXT) | instid1(VALU_DEP_1)
	v_ldexp_f64 v[10:11], v[10:11], 2
	v_dual_add_f64 v[8:9], v[20:21], -v[8:9] :: v_dual_cndmask_b32 v10, 0, v10, vcc_lo
	s_delay_alu instid0(VALU_DEP_1) | instskip(SKIP_1) | instid1(VALU_DEP_1)
	v_dual_add_f64 v[8:9], v[12:13], -v[8:9] :: v_dual_cndmask_b32 v11, 0, v11, vcc_lo
	v_add_f64_e32 v[12:13], v[18:19], v[4:5]
	v_add_f64_e32 v[14:15], v[8:9], v[12:13]
	v_add_f64_e64 v[26:27], v[12:13], -v[18:19]
	s_delay_alu instid0(VALU_DEP_2) | instskip(NEXT) | instid1(VALU_DEP_2)
	v_add_f64_e32 v[20:21], v[14:15], v[10:11]
	v_add_f64_e64 v[32:33], v[12:13], -v[26:27]
	v_add_f64_e64 v[4:5], v[4:5], -v[26:27]
	v_add_f64_e64 v[8:9], v[14:15], -v[8:9]
	s_delay_alu instid0(VALU_DEP_4) | instskip(SKIP_1) | instid1(VALU_DEP_3)
	v_cmp_gt_f64_e32 vcc_lo, 0, v[20:21]
	v_add_f64_e64 v[20:21], v[18:19], -v[22:23]
	v_add_f64_e64 v[8:9], v[12:13], -v[8:9]
	v_cndmask_b32_e64 v25, 0, 0x40100000, vcc_lo
	s_delay_alu instid0(VALU_DEP_3) | instskip(SKIP_2) | instid1(VALU_DEP_4)
	v_add_f64_e64 v[30:31], v[18:19], -v[20:21]
	v_add_f64_e64 v[6:7], v[6:7], -v[20:21]
	;; [unrolled: 1-line block ×3, first 2 shown]
	v_add_f64_e32 v[10:11], v[10:11], v[24:25]
	s_delay_alu instid0(VALU_DEP_4) | instskip(NEXT) | instid1(VALU_DEP_3)
	v_add_f64_e64 v[20:21], v[22:23], -v[30:31]
	v_add_f64_e32 v[4:5], v[4:5], v[18:19]
	s_delay_alu instid0(VALU_DEP_3) | instskip(NEXT) | instid1(VALU_DEP_3)
	v_add_f64_e32 v[28:29], v[14:15], v[10:11]
	v_add_f64_e32 v[6:7], v[6:7], v[20:21]
	s_delay_alu instid0(VALU_DEP_2) | instskip(NEXT) | instid1(VALU_DEP_2)
	v_cvt_i32_f64_e32 v25, v[28:29]
	v_add_f64_e32 v[4:5], v[6:7], v[4:5]
	s_delay_alu instid0(VALU_DEP_2) | instskip(NEXT) | instid1(VALU_DEP_2)
	v_cvt_f64_i32_e32 v[26:27], v25
	v_add_f64_e32 v[4:5], v[16:17], v[4:5]
	s_delay_alu instid0(VALU_DEP_2) | instskip(NEXT) | instid1(VALU_DEP_2)
	v_add_f64_e64 v[10:11], v[10:11], -v[26:27]
	v_add_f64_e32 v[4:5], v[8:9], v[4:5]
	s_delay_alu instid0(VALU_DEP_2) | instskip(NEXT) | instid1(VALU_DEP_1)
	v_add_f64_e32 v[6:7], v[14:15], v[10:11]
	v_add_f64_e64 v[10:11], v[6:7], -v[10:11]
	v_cmp_le_f64_e32 vcc_lo, 0.5, v[6:7]
	s_delay_alu instid0(VALU_DEP_2) | instskip(SKIP_2) | instid1(VALU_DEP_1)
	v_add_f64_e64 v[10:11], v[14:15], -v[10:11]
	v_add_co_ci_u32_e64 v8, null, 0, v25, vcc_lo
	v_cndmask_b32_e64 v25, 0, 0x3ff00000, vcc_lo
	v_add_f64_e64 v[6:7], v[6:7], -v[24:25]
	s_delay_alu instid0(VALU_DEP_4) | instskip(NEXT) | instid1(VALU_DEP_1)
	v_add_f64_e32 v[4:5], v[4:5], v[10:11]
	v_add_f64_e32 v[10:11], v[6:7], v[4:5]
	s_delay_alu instid0(VALU_DEP_1) | instskip(SKIP_1) | instid1(VALU_DEP_2)
	v_mul_f64_e32 v[12:13], 0x3ff921fb54442d18, v[10:11]
	v_add_f64_e64 v[6:7], v[10:11], -v[6:7]
	v_fma_f64 v[14:15], v[10:11], s[2:3], -v[12:13]
	s_delay_alu instid0(VALU_DEP_2) | instskip(NEXT) | instid1(VALU_DEP_2)
	v_add_f64_e64 v[4:5], v[4:5], -v[6:7]
	v_fmamk_f64 v[6:7], v[10:11], 0x3c91a62633145c07, v[14:15]
	s_delay_alu instid0(VALU_DEP_1) | instskip(NEXT) | instid1(VALU_DEP_1)
	v_fmac_f64_e32 v[6:7], 0x3ff921fb54442d18, v[4:5]
	v_add_f64_e32 v[4:5], v[12:13], v[6:7]
	s_delay_alu instid0(VALU_DEP_1) | instskip(NEXT) | instid1(VALU_DEP_1)
	v_add_f64_e64 v[10:11], v[4:5], -v[12:13]
	v_add_f64_e64 v[6:7], v[6:7], -v[10:11]
.LBB25_11:
	s_and_not1_saveexec_b32 s0, s0
	s_cbranch_execz .LBB25_13
; %bb.12:
	s_delay_alu instid0(VALU_DEP_1) | instskip(NEXT) | instid1(VALU_DEP_1)
	v_mul_f64_e32 v[4:5], 0x3fe45f306dc9c883, v[2:3]
	v_rndne_f64_e32 v[8:9], v[4:5]
	s_delay_alu instid0(VALU_DEP_1) | instskip(SKIP_1) | instid1(VALU_DEP_1)
	v_mul_f64_e32 v[4:5], 0xbc91a62633145c00, v[8:9]
	v_fmamk_f64 v[6:7], v[8:9], 0xbff921fb54442d18, v[2:3]
	v_add_f64_e32 v[10:11], v[6:7], v[4:5]
	s_delay_alu instid0(VALU_DEP_1) | instskip(SKIP_1) | instid1(VALU_DEP_1)
	v_add_f64_e64 v[12:13], v[6:7], -v[10:11]
	v_fmamk_f64 v[6:7], v[8:9], 0xbc91a62633145c00, v[6:7]
	v_add_f64_e64 v[10:11], v[10:11], -v[6:7]
	s_delay_alu instid0(VALU_DEP_3) | instskip(SKIP_1) | instid1(VALU_DEP_2)
	v_add_f64_e32 v[12:13], v[12:13], v[4:5]
	v_fmamk_f64 v[4:5], v[8:9], 0x3c91a62633145c00, v[4:5]
	v_add_f64_e32 v[10:11], v[10:11], v[12:13]
	s_delay_alu instid0(VALU_DEP_1) | instskip(NEXT) | instid1(VALU_DEP_1)
	v_add_f64_e64 v[4:5], v[10:11], -v[4:5]
	v_fmamk_f64 v[10:11], v[8:9], 0xb97b839a252049c0, v[4:5]
	v_cvt_i32_f64_e32 v8, v[8:9]
	s_delay_alu instid0(VALU_DEP_2) | instskip(NEXT) | instid1(VALU_DEP_1)
	v_add_f64_e32 v[4:5], v[6:7], v[10:11]
	v_add_f64_e64 v[6:7], v[4:5], -v[6:7]
	s_delay_alu instid0(VALU_DEP_1)
	v_add_f64_e64 v[6:7], v[10:11], -v[6:7]
.LBB25_13:
	s_or_b32 exec_lo, exec_lo, s0
	v_mul_f64_e32 v[10:11], v[4:5], v[4:5]
	s_delay_alu instid0(VALU_DEP_2) | instskip(SKIP_3) | instid1(VALU_DEP_1)
	v_mul_f64_e32 v[18:19], 0.5, v[6:7]
	s_mov_b64 s[0:1], 0x3de5e0b2f9a43bb8
	v_lshl_add_u64 v[0:1], v[0:1], 1, s[12:13]
	v_dual_lshlrev_b32 v8, 30, v8 :: v_dual_bitop2_b32 v2, 1, v8 bitop3:0x40
	v_cmp_eq_u32_e32 vcc_lo, 0, v2
	s_delay_alu instid0(VALU_DEP_2) | instskip(SKIP_4) | instid1(VALU_DEP_3)
	v_xor_b32_e32 v2, v8, v3
	v_mul_f64_e32 v[12:13], 0.5, v[10:11]
	v_mul_f64_e64 v[20:21], v[4:5], -v[10:11]
	v_fmaak_f64 v[22:23], s[0:1], v[10:11], 0xbe5ae600b42fdfa7
	s_mov_b64 s[0:1], 0xbda907db46cc5e42
	v_add_f64_e64 v[14:15], -v[12:13], 1.0
	s_delay_alu instid0(VALU_DEP_1) | instskip(NEXT) | instid1(VALU_DEP_1)
	v_add_f64_e64 v[16:17], -v[14:15], 1.0
	v_add_f64_e64 v[12:13], v[16:17], -v[12:13]
	s_delay_alu instid0(VALU_DEP_4) | instskip(SKIP_1) | instid1(VALU_DEP_2)
	v_fmaak_f64 v[16:17], v[10:11], v[22:23], 0x3ec71de3796cde01
	v_mul_f64_e32 v[22:23], v[10:11], v[10:11]
	v_fmaak_f64 v[16:17], v[10:11], v[16:17], 0xbf2a01a019e83e5c
	s_delay_alu instid0(VALU_DEP_1) | instskip(NEXT) | instid1(VALU_DEP_1)
	v_fmaak_f64 v[16:17], v[10:11], v[16:17], 0x3f81111111110bb3
	v_fmac_f64_e32 v[18:19], v[20:21], v[16:17]
	v_fmaak_f64 v[16:17], s[0:1], v[10:11], 0x3e21eeb69037ab78
	s_delay_alu instid0(VALU_DEP_1) | instskip(SKIP_1) | instid1(VALU_DEP_2)
	v_fmaak_f64 v[16:17], v[10:11], v[16:17], 0xbe927e4fa17f65f6
	v_fma_f64 v[12:13], v[4:5], -v[6:7], v[12:13]
	v_fmaak_f64 v[16:17], v[10:11], v[16:17], 0x3efa01a019f4ec90
	s_delay_alu instid0(VALU_DEP_1) | instskip(SKIP_1) | instid1(VALU_DEP_2)
	v_fmaak_f64 v[16:17], v[10:11], v[16:17], 0xbf56c16c16c16967
	v_fma_f64 v[6:7], v[10:11], v[18:19], -v[6:7]
	v_fmaak_f64 v[10:11], v[10:11], v[16:17], 0x3fa5555555555555
	s_delay_alu instid0(VALU_DEP_1) | instskip(NEXT) | instid1(VALU_DEP_3)
	v_fmac_f64_e32 v[12:13], v[22:23], v[10:11]
	v_fmamk_f64 v[6:7], v[20:21], 0xbfc5555555555555, v[6:7]
	s_delay_alu instid0(VALU_DEP_1) | instskip(NEXT) | instid1(VALU_DEP_3)
	v_add_f64_e64 v[4:5], v[4:5], -v[6:7]
	v_add_f64_e32 v[6:7], v[14:15], v[12:13]
	s_delay_alu instid0(VALU_DEP_1) | instskip(NEXT) | instid1(VALU_DEP_1)
	v_dual_cndmask_b32 v3, v6, v4 :: v_dual_cndmask_b32 v4, v7, v5
	v_bitop3_b32 v2, v4, v2, 0x80000000 bitop3:0x78
	v_lshrrev_b32_e32 v5, 8, v4
	v_bfe_u32 v4, v4, 20, 11
	s_delay_alu instid0(VALU_DEP_3) | instskip(SKIP_1) | instid1(VALU_DEP_3)
	v_and_or_b32 v3, 0x1ff, v2, v3
	v_lshrrev_b32_e32 v2, 16, v2
	v_sub_nc_u32_e32 v6, 0x3f1, v4
	v_add_nc_u32_e32 v4, 0xfffffc10, v4
	s_delay_alu instid0(VALU_DEP_4) | instskip(SKIP_1) | instid1(VALU_DEP_1)
	v_cmp_ne_u32_e32 vcc_lo, 0, v3
	v_cndmask_b32_e64 v3, 0, 1, vcc_lo
	v_and_or_b32 v3, 0xffe, v5, v3
	v_med3_i32 v5, v6, 0, 13
	s_delay_alu instid0(VALU_DEP_2) | instskip(NEXT) | instid1(VALU_DEP_1)
	v_or_b32_e32 v6, 0x1000, v3
	v_lshrrev_b32_e32 v7, v5, v6
	s_delay_alu instid0(VALU_DEP_1) | instskip(NEXT) | instid1(VALU_DEP_1)
	v_lshlrev_b32_e32 v5, v5, v7
	v_cmp_ne_u32_e32 vcc_lo, v5, v6
	v_lshl_or_b32 v6, v4, 12, v3
	v_cndmask_b32_e64 v5, 0, 1, vcc_lo
	v_cmp_gt_i32_e32 vcc_lo, 1, v4
	s_delay_alu instid0(VALU_DEP_2) | instskip(NEXT) | instid1(VALU_DEP_1)
	v_or_b32_e32 v5, v7, v5
	v_cndmask_b32_e32 v5, v6, v5, vcc_lo
	s_delay_alu instid0(VALU_DEP_1) | instskip(NEXT) | instid1(VALU_DEP_1)
	v_dual_lshrrev_b32 v5, 2, v5 :: v_dual_bitop2_b32 v6, 7, v5 bitop3:0x40
	v_cmp_lt_i32_e32 vcc_lo, 5, v6
	v_cndmask_b32_e64 v7, 0, 1, vcc_lo
	v_cmp_eq_u32_e32 vcc_lo, 3, v6
	v_cndmask_b32_e64 v6, 0, 1, vcc_lo
	v_cmp_ne_u32_e32 vcc_lo, 0, v3
	s_delay_alu instid0(VALU_DEP_2) | instskip(SKIP_1) | instid1(VALU_DEP_2)
	v_or_b32_e32 v6, v6, v7
	v_mov_b32_e32 v7, 0x7e00
	v_add_nc_u32_e32 v5, v5, v6
	s_delay_alu instid0(VALU_DEP_2) | instskip(SKIP_1) | instid1(VALU_DEP_3)
	v_cndmask_b32_e32 v3, 0x7c00, v7, vcc_lo
	v_cmp_gt_i32_e32 vcc_lo, 31, v4
	v_cndmask_b32_e32 v5, 0x7c00, v5, vcc_lo
	v_cmp_eq_u32_e32 vcc_lo, 0x40f, v4
	s_delay_alu instid0(VALU_DEP_2) | instskip(NEXT) | instid1(VALU_DEP_1)
	v_cndmask_b32_e32 v3, v5, v3, vcc_lo
	v_and_or_b32 v2, 0x8000, v2, v3
	global_store_b16 v[0:1], v2, off
.LBB25_14:
	s_endpgm
	.section	.rodata,"a",@progbits
	.p2align	6, 0x0
	.amdhsa_kernel _Z11fill_kernelIDF16_Z21hipblaslt_init_deviceIDF16_Ev8ABC_dims24hipblaslt_initializationbPT_mmmmmEUlmE2_EvS4_mmT0_
		.amdhsa_group_segment_fixed_size 0
		.amdhsa_private_segment_fixed_size 0
		.amdhsa_kernarg_size 312
		.amdhsa_user_sgpr_count 2
		.amdhsa_user_sgpr_dispatch_ptr 0
		.amdhsa_user_sgpr_queue_ptr 0
		.amdhsa_user_sgpr_kernarg_segment_ptr 1
		.amdhsa_user_sgpr_dispatch_id 0
		.amdhsa_user_sgpr_kernarg_preload_length 0
		.amdhsa_user_sgpr_kernarg_preload_offset 0
		.amdhsa_user_sgpr_private_segment_size 0
		.amdhsa_wavefront_size32 1
		.amdhsa_uses_dynamic_stack 0
		.amdhsa_enable_private_segment 0
		.amdhsa_system_sgpr_workgroup_id_x 1
		.amdhsa_system_sgpr_workgroup_id_y 0
		.amdhsa_system_sgpr_workgroup_id_z 0
		.amdhsa_system_sgpr_workgroup_info 0
		.amdhsa_system_vgpr_workitem_id 0
		.amdhsa_next_free_vgpr 34
		.amdhsa_next_free_sgpr 24
		.amdhsa_named_barrier_count 0
		.amdhsa_reserve_vcc 1
		.amdhsa_float_round_mode_32 0
		.amdhsa_float_round_mode_16_64 0
		.amdhsa_float_denorm_mode_32 3
		.amdhsa_float_denorm_mode_16_64 3
		.amdhsa_fp16_overflow 0
		.amdhsa_memory_ordered 1
		.amdhsa_forward_progress 1
		.amdhsa_inst_pref_size 24
		.amdhsa_round_robin_scheduling 0
		.amdhsa_exception_fp_ieee_invalid_op 0
		.amdhsa_exception_fp_denorm_src 0
		.amdhsa_exception_fp_ieee_div_zero 0
		.amdhsa_exception_fp_ieee_overflow 0
		.amdhsa_exception_fp_ieee_underflow 0
		.amdhsa_exception_fp_ieee_inexact 0
		.amdhsa_exception_int_div_zero 0
	.end_amdhsa_kernel
	.section	.text._Z11fill_kernelIDF16_Z21hipblaslt_init_deviceIDF16_Ev8ABC_dims24hipblaslt_initializationbPT_mmmmmEUlmE2_EvS4_mmT0_,"axG",@progbits,_Z11fill_kernelIDF16_Z21hipblaslt_init_deviceIDF16_Ev8ABC_dims24hipblaslt_initializationbPT_mmmmmEUlmE2_EvS4_mmT0_,comdat
.Lfunc_end25:
	.size	_Z11fill_kernelIDF16_Z21hipblaslt_init_deviceIDF16_Ev8ABC_dims24hipblaslt_initializationbPT_mmmmmEUlmE2_EvS4_mmT0_, .Lfunc_end25-_Z11fill_kernelIDF16_Z21hipblaslt_init_deviceIDF16_Ev8ABC_dims24hipblaslt_initializationbPT_mmmmmEUlmE2_EvS4_mmT0_
                                        ; -- End function
	.set _Z11fill_kernelIDF16_Z21hipblaslt_init_deviceIDF16_Ev8ABC_dims24hipblaslt_initializationbPT_mmmmmEUlmE2_EvS4_mmT0_.num_vgpr, 34
	.set _Z11fill_kernelIDF16_Z21hipblaslt_init_deviceIDF16_Ev8ABC_dims24hipblaslt_initializationbPT_mmmmmEUlmE2_EvS4_mmT0_.num_agpr, 0
	.set _Z11fill_kernelIDF16_Z21hipblaslt_init_deviceIDF16_Ev8ABC_dims24hipblaslt_initializationbPT_mmmmmEUlmE2_EvS4_mmT0_.numbered_sgpr, 24
	.set _Z11fill_kernelIDF16_Z21hipblaslt_init_deviceIDF16_Ev8ABC_dims24hipblaslt_initializationbPT_mmmmmEUlmE2_EvS4_mmT0_.num_named_barrier, 0
	.set _Z11fill_kernelIDF16_Z21hipblaslt_init_deviceIDF16_Ev8ABC_dims24hipblaslt_initializationbPT_mmmmmEUlmE2_EvS4_mmT0_.private_seg_size, 0
	.set _Z11fill_kernelIDF16_Z21hipblaslt_init_deviceIDF16_Ev8ABC_dims24hipblaslt_initializationbPT_mmmmmEUlmE2_EvS4_mmT0_.uses_vcc, 1
	.set _Z11fill_kernelIDF16_Z21hipblaslt_init_deviceIDF16_Ev8ABC_dims24hipblaslt_initializationbPT_mmmmmEUlmE2_EvS4_mmT0_.uses_flat_scratch, 0
	.set _Z11fill_kernelIDF16_Z21hipblaslt_init_deviceIDF16_Ev8ABC_dims24hipblaslt_initializationbPT_mmmmmEUlmE2_EvS4_mmT0_.has_dyn_sized_stack, 0
	.set _Z11fill_kernelIDF16_Z21hipblaslt_init_deviceIDF16_Ev8ABC_dims24hipblaslt_initializationbPT_mmmmmEUlmE2_EvS4_mmT0_.has_recursion, 0
	.set _Z11fill_kernelIDF16_Z21hipblaslt_init_deviceIDF16_Ev8ABC_dims24hipblaslt_initializationbPT_mmmmmEUlmE2_EvS4_mmT0_.has_indirect_call, 0
	.section	.AMDGPU.csdata,"",@progbits
; Kernel info:
; codeLenInByte = 3004
; TotalNumSgprs: 26
; NumVgprs: 34
; ScratchSize: 0
; MemoryBound: 0
; FloatMode: 240
; IeeeMode: 1
; LDSByteSize: 0 bytes/workgroup (compile time only)
; SGPRBlocks: 0
; VGPRBlocks: 2
; NumSGPRsForWavesPerEU: 26
; NumVGPRsForWavesPerEU: 34
; NamedBarCnt: 0
; Occupancy: 16
; WaveLimiterHint : 0
; COMPUTE_PGM_RSRC2:SCRATCH_EN: 0
; COMPUTE_PGM_RSRC2:USER_SGPR: 2
; COMPUTE_PGM_RSRC2:TRAP_HANDLER: 0
; COMPUTE_PGM_RSRC2:TGID_X_EN: 1
; COMPUTE_PGM_RSRC2:TGID_Y_EN: 0
; COMPUTE_PGM_RSRC2:TGID_Z_EN: 0
; COMPUTE_PGM_RSRC2:TIDIG_COMP_CNT: 0
	.section	.text._Z11fill_kernelIDF16_Z21hipblaslt_init_deviceIDF16_Ev8ABC_dims24hipblaslt_initializationbPT_mmmmmEUlmE3_EvS4_mmT0_,"axG",@progbits,_Z11fill_kernelIDF16_Z21hipblaslt_init_deviceIDF16_Ev8ABC_dims24hipblaslt_initializationbPT_mmmmmEUlmE3_EvS4_mmT0_,comdat
	.protected	_Z11fill_kernelIDF16_Z21hipblaslt_init_deviceIDF16_Ev8ABC_dims24hipblaslt_initializationbPT_mmmmmEUlmE3_EvS4_mmT0_ ; -- Begin function _Z11fill_kernelIDF16_Z21hipblaslt_init_deviceIDF16_Ev8ABC_dims24hipblaslt_initializationbPT_mmmmmEUlmE3_EvS4_mmT0_
	.globl	_Z11fill_kernelIDF16_Z21hipblaslt_init_deviceIDF16_Ev8ABC_dims24hipblaslt_initializationbPT_mmmmmEUlmE3_EvS4_mmT0_
	.p2align	8
	.type	_Z11fill_kernelIDF16_Z21hipblaslt_init_deviceIDF16_Ev8ABC_dims24hipblaslt_initializationbPT_mmmmmEUlmE3_EvS4_mmT0_,@function
_Z11fill_kernelIDF16_Z21hipblaslt_init_deviceIDF16_Ev8ABC_dims24hipblaslt_initializationbPT_mmmmmEUlmE3_EvS4_mmT0_: ; @_Z11fill_kernelIDF16_Z21hipblaslt_init_deviceIDF16_Ev8ABC_dims24hipblaslt_initializationbPT_mmmmmEUlmE3_EvS4_mmT0_
; %bb.0:
	s_clause 0x1
	s_load_b32 s2, s[0:1], 0x44
	s_load_b128 s[12:15], s[0:1], 0x0
	s_bfe_u32 s3, ttmp6, 0x4000c
	s_and_b32 s4, ttmp6, 15
	s_add_co_i32 s3, s3, 1
	s_getreg_b32 s5, hwreg(HW_REG_IB_STS2, 6, 4)
	s_mul_i32 s3, ttmp9, s3
	v_mov_b32_e32 v3, 0
	s_add_co_i32 s4, s4, s3
	s_wait_kmcnt 0x0
	s_and_b32 s2, s2, 0xffff
	s_cmp_eq_u32 s5, 0
	s_cselect_b32 s3, ttmp9, s4
	s_delay_alu instid0(SALU_CYCLE_1) | instskip(SKIP_1) | instid1(VALU_DEP_1)
	v_mad_u32 v2, s3, s2, v0
	s_mov_b32 s2, exec_lo
	v_cmpx_gt_u64_e64 s[14:15], v[2:3]
	s_cbranch_execz .LBB26_14
; %bb.1:
	s_clause 0x1
	s_load_b64 s[2:3], s[0:1], 0x10
	s_load_b256 s[4:11], s[0:1], 0x18
	s_wait_xcnt 0x0
	s_mov_b32 s0, exec_lo
	v_mov_b32_e32 v4, v3
	s_wait_kmcnt 0x0
	v_add_nc_u64_e32 v[0:1], s[2:3], v[2:3]
                                        ; implicit-def: $vgpr2_vgpr3
	s_delay_alu instid0(VALU_DEP_1) | instskip(NEXT) | instid1(VALU_DEP_1)
	v_or_b32_e32 v5, s9, v1
	v_cmpx_ne_u64_e32 0, v[4:5]
	s_xor_b32 s1, exec_lo, s0
	s_cbranch_execz .LBB26_3
; %bb.2:
	s_cvt_f32_u32 s0, s8
	s_cvt_f32_u32 s2, s9
	s_sub_nc_u64 s[14:15], 0, s[8:9]
	s_mov_b32 s19, 0
	v_dual_mov_b32 v3, 0 :: v_dual_mov_b32 v2, v0
	s_fmamk_f32 s0, s2, 0x4f800000, s0
	s_delay_alu instid0(SALU_CYCLE_3) | instskip(NEXT) | instid1(TRANS32_DEP_1)
	v_s_rcp_f32 s0, s0
	s_mul_f32 s0, s0, 0x5f7ffffc
	s_delay_alu instid0(SALU_CYCLE_3) | instskip(NEXT) | instid1(SALU_CYCLE_3)
	s_mul_f32 s2, s0, 0x2f800000
	s_trunc_f32 s2, s2
	s_delay_alu instid0(SALU_CYCLE_3) | instskip(SKIP_1) | instid1(SALU_CYCLE_2)
	s_fmamk_f32 s0, s2, 0xcf800000, s0
	s_cvt_u32_f32 s3, s2
	s_cvt_u32_f32 s2, s0
	s_delay_alu instid0(SALU_CYCLE_3) | instskip(NEXT) | instid1(SALU_CYCLE_1)
	s_mul_u64 s[16:17], s[14:15], s[2:3]
	s_mul_hi_u32 s21, s2, s17
	s_mul_i32 s20, s2, s17
	s_mul_hi_u32 s18, s2, s16
	s_mul_i32 s22, s3, s16
	s_add_nc_u64 s[20:21], s[18:19], s[20:21]
	s_mul_hi_u32 s0, s3, s16
	s_mul_hi_u32 s23, s3, s17
	s_mul_i32 s16, s3, s17
	s_add_co_u32 s17, s20, s22
	s_add_co_ci_u32 s18, s21, s0
	s_add_co_ci_u32 s17, s23, 0
	s_delay_alu instid0(SALU_CYCLE_1) | instskip(NEXT) | instid1(SALU_CYCLE_1)
	s_add_nc_u64 s[16:17], s[18:19], s[16:17]
	s_add_co_u32 s2, s2, s16
	s_cselect_b32 s0, -1, 0
	s_delay_alu instid0(SALU_CYCLE_1) | instskip(SKIP_1) | instid1(SALU_CYCLE_1)
	s_cmp_lg_u32 s0, 0
	s_add_co_ci_u32 s3, s3, s17
	s_mul_u64 s[14:15], s[14:15], s[2:3]
	s_delay_alu instid0(SALU_CYCLE_1)
	s_mul_hi_u32 s17, s2, s15
	s_mul_i32 s16, s2, s15
	s_mul_hi_u32 s18, s2, s14
	s_mul_i32 s20, s3, s14
	s_add_nc_u64 s[16:17], s[18:19], s[16:17]
	s_mul_hi_u32 s0, s3, s14
	s_mul_hi_u32 s21, s3, s15
	s_mul_i32 s14, s3, s15
	s_add_co_u32 s15, s16, s20
	s_add_co_ci_u32 s18, s17, s0
	s_add_co_ci_u32 s15, s21, 0
	s_delay_alu instid0(SALU_CYCLE_1) | instskip(NEXT) | instid1(SALU_CYCLE_1)
	s_add_nc_u64 s[14:15], s[18:19], s[14:15]
	s_add_co_u32 s0, s2, s14
	s_cselect_b32 s2, -1, 0
	s_delay_alu instid0(SALU_CYCLE_1)
	s_cmp_lg_u32 s2, 0
	s_add_co_ci_u32 s18, s3, s15
	s_mov_b64 s[2:3], 0xffffffff
	v_mul_u64_e32 v[4:5], s[18:19], v[2:3]
	v_mul_hi_u32 v2, v0, s0
	s_and_b64 s[2:3], s[0:1], s[2:3]
	s_delay_alu instid0(VALU_DEP_1) | instskip(SKIP_1) | instid1(VALU_DEP_1)
	v_add_nc_u64_e32 v[4:5], v[2:3], v[4:5]
	v_mov_b32_e32 v2, v1
	v_mul_u64_e32 v[6:7], s[2:3], v[2:3]
	v_mul_u64_e32 v[8:9], s[18:19], v[2:3]
	s_delay_alu instid0(VALU_DEP_2) | instskip(NEXT) | instid1(VALU_DEP_3)
	v_add_co_u32 v2, vcc_lo, v4, v6
	v_add_co_ci_u32_e32 v2, vcc_lo, v5, v7, vcc_lo
	s_delay_alu instid0(VALU_DEP_3) | instskip(NEXT) | instid1(VALU_DEP_1)
	v_add_co_ci_u32_e32 v9, vcc_lo, 0, v9, vcc_lo
	v_add_nc_u64_e32 v[2:3], v[2:3], v[8:9]
	s_delay_alu instid0(VALU_DEP_1) | instskip(NEXT) | instid1(VALU_DEP_1)
	v_mul_u64_e32 v[4:5], s[8:9], v[2:3]
	v_sub_nc_u32_e32 v6, v1, v5
	s_delay_alu instid0(VALU_DEP_2) | instskip(NEXT) | instid1(VALU_DEP_1)
	v_sub_co_u32 v4, vcc_lo, v0, v4
	v_sub_co_ci_u32_e64 v11, null, v1, v5, vcc_lo
	s_delay_alu instid0(VALU_DEP_3) | instskip(NEXT) | instid1(VALU_DEP_3)
	v_subrev_co_ci_u32_e64 v6, null, s9, v6, vcc_lo
	v_sub_co_u32 v8, s0, v4, s8
	v_cmp_le_u32_e32 vcc_lo, s8, v4
	s_delay_alu instid0(VALU_DEP_3) | instskip(NEXT) | instid1(VALU_DEP_3)
	v_subrev_co_ci_u32_e64 v9, null, 0, v6, s0
	v_cmp_le_u32_e64 s0, s8, v8
	v_add_nc_u64_e32 v[6:7], 2, v[2:3]
	v_cndmask_b32_e64 v12, 0, -1, vcc_lo
	s_delay_alu instid0(VALU_DEP_4) | instskip(SKIP_3) | instid1(VALU_DEP_1)
	v_cmp_eq_u32_e32 vcc_lo, s9, v9
	v_add_nc_u64_e32 v[4:5], 1, v[2:3]
	v_cndmask_b32_e64 v8, 0, -1, s0
	v_cmp_le_u32_e64 s0, s9, v9
	v_cndmask_b32_e64 v10, 0, -1, s0
	v_cmp_eq_u32_e64 s0, s9, v11
	s_delay_alu instid0(VALU_DEP_2) | instskip(SKIP_2) | instid1(VALU_DEP_3)
	v_cndmask_b32_e32 v8, v10, v8, vcc_lo
	v_cmp_le_u32_e32 vcc_lo, s9, v11
	v_cndmask_b32_e64 v9, 0, -1, vcc_lo
	v_cmp_ne_u32_e32 vcc_lo, 0, v8
	s_delay_alu instid0(VALU_DEP_2) | instskip(SKIP_1) | instid1(VALU_DEP_2)
	v_dual_cndmask_b32 v8, v9, v12, s0 :: v_dual_cndmask_b32 v4, v4, v6, vcc_lo
	v_cndmask_b32_e32 v5, v5, v7, vcc_lo
	v_cmp_ne_u32_e32 vcc_lo, 0, v8
	s_delay_alu instid0(VALU_DEP_2)
	v_dual_cndmask_b32 v3, v3, v5 :: v_dual_cndmask_b32 v2, v2, v4
.LBB26_3:
	s_and_not1_saveexec_b32 s0, s1
	s_cbranch_execz .LBB26_5
; %bb.4:
	v_cvt_f32_u32_e32 v2, s8
	s_sub_co_i32 s1, 0, s8
	s_delay_alu instid0(VALU_DEP_1) | instskip(SKIP_1) | instid1(TRANS32_DEP_1)
	v_rcp_iflag_f32_e32 v2, v2
	v_nop
	v_mul_f32_e32 v2, 0x4f7ffffe, v2
	s_delay_alu instid0(VALU_DEP_1) | instskip(NEXT) | instid1(VALU_DEP_1)
	v_cvt_u32_f32_e32 v2, v2
	v_mul_lo_u32 v3, s1, v2
	s_delay_alu instid0(VALU_DEP_1) | instskip(NEXT) | instid1(VALU_DEP_1)
	v_mul_hi_u32 v3, v2, v3
	v_add_nc_u32_e32 v2, v2, v3
	s_delay_alu instid0(VALU_DEP_1) | instskip(NEXT) | instid1(VALU_DEP_1)
	v_mul_hi_u32 v2, v0, v2
	v_mul_lo_u32 v3, v2, s8
	s_delay_alu instid0(VALU_DEP_1) | instskip(NEXT) | instid1(VALU_DEP_1)
	v_dual_add_nc_u32 v4, 1, v2 :: v_dual_sub_nc_u32 v3, v0, v3
	v_subrev_nc_u32_e32 v5, s8, v3
	v_cmp_le_u32_e32 vcc_lo, s8, v3
	s_delay_alu instid0(VALU_DEP_2) | instskip(NEXT) | instid1(VALU_DEP_1)
	v_dual_cndmask_b32 v3, v3, v5 :: v_dual_cndmask_b32 v2, v2, v4
	v_cmp_le_u32_e32 vcc_lo, s8, v3
	s_delay_alu instid0(VALU_DEP_2) | instskip(NEXT) | instid1(VALU_DEP_1)
	v_dual_mov_b32 v3, 0 :: v_dual_add_nc_u32 v4, 1, v2
	v_cndmask_b32_e32 v2, v2, v4, vcc_lo
.LBB26_5:
	s_or_b32 exec_lo, exec_lo, s0
	s_delay_alu instid0(VALU_DEP_1) | instskip(SKIP_2) | instid1(VALU_DEP_2)
	v_mul_u64_e32 v[4:5], s[8:9], v[2:3]
                                        ; implicit-def: $vgpr8_vgpr9
	s_mov_b32 s0, exec_lo
	v_mov_b32_e32 v6, 0
	v_sub_nc_u64_e32 v[4:5], v[0:1], v[4:5]
	s_delay_alu instid0(VALU_DEP_1) | instskip(NEXT) | instid1(VALU_DEP_1)
	v_or_b32_e32 v7, s11, v5
	v_cmpx_ne_u64_e32 0, v[6:7]
	s_xor_b32 s1, exec_lo, s0
	s_cbranch_execz .LBB26_7
; %bb.6:
	s_cvt_f32_u32 s0, s10
	s_cvt_f32_u32 s2, s11
	s_sub_nc_u64 s[8:9], 0, s[10:11]
	s_mov_b32 s17, 0
	v_dual_mov_b32 v8, v4 :: v_dual_mov_b32 v9, v6
	s_fmamk_f32 s0, s2, 0x4f800000, s0
	v_dual_mov_b32 v10, v5 :: v_dual_mov_b32 v11, v6
	v_dual_mov_b32 v15, v6 :: v_dual_mov_b32 v7, v6
	s_delay_alu instid0(SALU_CYCLE_1) | instskip(NEXT) | instid1(TRANS32_DEP_1)
	v_s_rcp_f32 s0, s0
	s_mul_f32 s0, s0, 0x5f7ffffc
	s_delay_alu instid0(SALU_CYCLE_3) | instskip(NEXT) | instid1(SALU_CYCLE_3)
	s_mul_f32 s2, s0, 0x2f800000
	s_trunc_f32 s2, s2
	s_delay_alu instid0(SALU_CYCLE_3) | instskip(SKIP_1) | instid1(SALU_CYCLE_2)
	s_fmamk_f32 s0, s2, 0xcf800000, s0
	s_cvt_u32_f32 s3, s2
	s_cvt_u32_f32 s2, s0
	s_delay_alu instid0(SALU_CYCLE_3) | instskip(NEXT) | instid1(SALU_CYCLE_1)
	s_mul_u64 s[14:15], s[8:9], s[2:3]
	s_mul_hi_u32 s19, s2, s15
	s_mul_i32 s18, s2, s15
	s_mul_hi_u32 s16, s2, s14
	s_mul_i32 s20, s3, s14
	s_add_nc_u64 s[18:19], s[16:17], s[18:19]
	s_mul_hi_u32 s0, s3, s14
	s_mul_hi_u32 s21, s3, s15
	s_mul_i32 s14, s3, s15
	s_add_co_u32 s15, s18, s20
	s_add_co_ci_u32 s16, s19, s0
	s_add_co_ci_u32 s15, s21, 0
	s_delay_alu instid0(SALU_CYCLE_1) | instskip(NEXT) | instid1(SALU_CYCLE_1)
	s_add_nc_u64 s[14:15], s[16:17], s[14:15]
	s_add_co_u32 s2, s2, s14
	s_cselect_b32 s0, -1, 0
	s_delay_alu instid0(SALU_CYCLE_1) | instskip(SKIP_1) | instid1(SALU_CYCLE_1)
	s_cmp_lg_u32 s0, 0
	s_add_co_ci_u32 s3, s3, s15
	s_mul_u64 s[8:9], s[8:9], s[2:3]
	s_delay_alu instid0(SALU_CYCLE_1)
	s_mul_hi_u32 s15, s2, s9
	s_mul_i32 s14, s2, s9
	s_mul_hi_u32 s16, s2, s8
	s_mul_i32 s18, s3, s8
	s_add_nc_u64 s[14:15], s[16:17], s[14:15]
	s_mul_hi_u32 s0, s3, s8
	s_mul_hi_u32 s19, s3, s9
	s_mul_i32 s8, s3, s9
	s_add_co_u32 s9, s14, s18
	s_add_co_ci_u32 s16, s15, s0
	s_add_co_ci_u32 s9, s19, 0
	s_delay_alu instid0(SALU_CYCLE_1) | instskip(NEXT) | instid1(SALU_CYCLE_1)
	s_add_nc_u64 s[8:9], s[16:17], s[8:9]
	s_add_co_u32 s0, s2, s8
	s_cselect_b32 s2, -1, 0
	v_nop
	v_mul_hi_u32 v14, v4, s0
	s_cmp_lg_u32 s2, 0
	s_add_co_ci_u32 s16, s3, s9
	s_mov_b64 s[2:3], 0xffffffff
	v_mul_u64_e32 v[8:9], s[16:17], v[8:9]
	s_and_b64 s[2:3], s[0:1], s[2:3]
	s_delay_alu instid0(SALU_CYCLE_1) | instskip(SKIP_1) | instid1(VALU_DEP_3)
	v_mul_u64_e32 v[12:13], s[2:3], v[10:11]
	v_mul_u64_e32 v[10:11], s[16:17], v[10:11]
	v_add_nc_u64_e32 v[8:9], v[14:15], v[8:9]
	s_delay_alu instid0(VALU_DEP_1) | instskip(NEXT) | instid1(VALU_DEP_2)
	v_add_co_u32 v6, vcc_lo, v8, v12
	v_add_co_ci_u32_e32 v6, vcc_lo, v9, v13, vcc_lo
	s_delay_alu instid0(VALU_DEP_4) | instskip(NEXT) | instid1(VALU_DEP_1)
	v_add_co_ci_u32_e32 v11, vcc_lo, 0, v11, vcc_lo
	v_add_nc_u64_e32 v[6:7], v[6:7], v[10:11]
	s_delay_alu instid0(VALU_DEP_1) | instskip(NEXT) | instid1(VALU_DEP_1)
	v_mul_u64_e32 v[8:9], s[10:11], v[6:7]
	v_sub_nc_u32_e32 v10, v5, v9
	s_delay_alu instid0(VALU_DEP_2) | instskip(NEXT) | instid1(VALU_DEP_1)
	v_sub_co_u32 v8, vcc_lo, v4, v8
	v_sub_co_ci_u32_e64 v15, null, v5, v9, vcc_lo
	s_delay_alu instid0(VALU_DEP_3) | instskip(NEXT) | instid1(VALU_DEP_3)
	v_subrev_co_ci_u32_e64 v10, null, s11, v10, vcc_lo
	v_sub_co_u32 v12, s0, v8, s10
	v_cmp_le_u32_e32 vcc_lo, s10, v8
	s_delay_alu instid0(VALU_DEP_3) | instskip(NEXT) | instid1(VALU_DEP_3)
	v_subrev_co_ci_u32_e64 v13, null, 0, v10, s0
	v_cmp_le_u32_e64 s0, s10, v12
	v_add_nc_u64_e32 v[10:11], 2, v[6:7]
	v_cndmask_b32_e64 v16, 0, -1, vcc_lo
	s_delay_alu instid0(VALU_DEP_4) | instskip(SKIP_3) | instid1(VALU_DEP_1)
	v_cmp_eq_u32_e32 vcc_lo, s11, v13
	v_add_nc_u64_e32 v[8:9], 1, v[6:7]
	v_cndmask_b32_e64 v12, 0, -1, s0
	v_cmp_le_u32_e64 s0, s11, v13
	v_cndmask_b32_e64 v14, 0, -1, s0
	v_cmp_eq_u32_e64 s0, s11, v15
	s_delay_alu instid0(VALU_DEP_2) | instskip(SKIP_2) | instid1(VALU_DEP_3)
	v_cndmask_b32_e32 v12, v14, v12, vcc_lo
	v_cmp_le_u32_e32 vcc_lo, s11, v15
	v_cndmask_b32_e64 v13, 0, -1, vcc_lo
	v_cmp_ne_u32_e32 vcc_lo, 0, v12
	s_delay_alu instid0(VALU_DEP_2) | instskip(SKIP_1) | instid1(VALU_DEP_2)
	v_dual_cndmask_b32 v12, v13, v16, s0 :: v_dual_cndmask_b32 v8, v8, v10, vcc_lo
	v_cndmask_b32_e32 v9, v9, v11, vcc_lo
	v_cmp_ne_u32_e32 vcc_lo, 0, v12
	s_delay_alu instid0(VALU_DEP_2)
	v_dual_cndmask_b32 v8, v6, v8 :: v_dual_cndmask_b32 v9, v7, v9
.LBB26_7:
	s_and_not1_saveexec_b32 s0, s1
	s_cbranch_execz .LBB26_9
; %bb.8:
	v_cvt_f32_u32_e32 v6, s10
	s_sub_co_i32 s1, 0, s10
	s_delay_alu instid0(VALU_DEP_1) | instskip(SKIP_1) | instid1(TRANS32_DEP_1)
	v_rcp_iflag_f32_e32 v6, v6
	v_nop
	v_mul_f32_e32 v6, 0x4f7ffffe, v6
	s_delay_alu instid0(VALU_DEP_1) | instskip(NEXT) | instid1(VALU_DEP_1)
	v_cvt_u32_f32_e32 v6, v6
	v_mul_lo_u32 v7, s1, v6
	s_delay_alu instid0(VALU_DEP_1) | instskip(NEXT) | instid1(VALU_DEP_1)
	v_mul_hi_u32 v7, v6, v7
	v_add_nc_u32_e32 v6, v6, v7
	s_delay_alu instid0(VALU_DEP_1) | instskip(NEXT) | instid1(VALU_DEP_1)
	v_mul_hi_u32 v6, v4, v6
	v_mul_lo_u32 v7, v6, s10
	s_delay_alu instid0(VALU_DEP_1) | instskip(NEXT) | instid1(VALU_DEP_1)
	v_dual_add_nc_u32 v8, 1, v6 :: v_dual_sub_nc_u32 v7, v4, v7
	v_subrev_nc_u32_e32 v9, s10, v7
	v_cmp_le_u32_e32 vcc_lo, s10, v7
	s_delay_alu instid0(VALU_DEP_2) | instskip(NEXT) | instid1(VALU_DEP_4)
	v_dual_cndmask_b32 v7, v7, v9, vcc_lo :: v_dual_mov_b32 v9, 0
	v_cndmask_b32_e32 v6, v6, v8, vcc_lo
	s_delay_alu instid0(VALU_DEP_2) | instskip(NEXT) | instid1(VALU_DEP_2)
	v_cmp_le_u32_e32 vcc_lo, s10, v7
	v_add_nc_u32_e32 v8, 1, v6
	s_delay_alu instid0(VALU_DEP_1)
	v_cndmask_b32_e32 v8, v6, v8, vcc_lo
.LBB26_9:
	s_or_b32 exec_lo, exec_lo, s0
	s_delay_alu instid0(VALU_DEP_1) | instskip(SKIP_1) | instid1(VALU_DEP_1)
	v_mul_u64_e32 v[6:7], s[10:11], v[8:9]
	v_mad_nc_u64_u32 v[8:9], v2, s6, v[8:9]
	v_mad_u32 v3, v3, s6, v9
	s_delay_alu instid0(VALU_DEP_1) | instskip(NEXT) | instid1(VALU_DEP_4)
	v_mad_u32 v2, v2, s7, v3
	v_sub_nc_u64_e32 v[4:5], v[4:5], v[6:7]
	s_delay_alu instid0(VALU_DEP_1) | instskip(NEXT) | instid1(VALU_DEP_1)
	v_mad_nc_u64_u32 v[4:5], v8, s4, v[4:5]
	v_mad_u32 v2, v2, s4, v5
	s_delay_alu instid0(VALU_DEP_2) | instskip(NEXT) | instid1(VALU_DEP_2)
	v_cvt_f64_u32_e32 v[6:7], v4
	v_mad_u32 v5, v8, s5, v2
                                        ; implicit-def: $vgpr8
	s_delay_alu instid0(VALU_DEP_1) | instskip(SKIP_1) | instid1(VALU_DEP_2)
	v_cvt_f64_u32_e32 v[2:3], v5
	v_cmp_lt_u64_e32 vcc_lo, 0x3fffffff, v[4:5]
                                        ; implicit-def: $vgpr4_vgpr5
	v_ldexp_f64 v[2:3], v[2:3], 32
	s_delay_alu instid0(VALU_DEP_1) | instskip(SKIP_1) | instid1(SALU_CYCLE_1)
	v_add_f64_e32 v[2:3], v[2:3], v[6:7]
                                        ; implicit-def: $vgpr6_vgpr7
	s_and_saveexec_b32 s0, vcc_lo
	s_xor_b32 s0, exec_lo, s0
	s_cbranch_execz .LBB26_11
; %bb.10:
	s_delay_alu instid0(VALU_DEP_1) | instskip(SKIP_3) | instid1(VALU_DEP_3)
	v_trig_preop_f64 v[4:5], v[2:3], 0
	v_trig_preop_f64 v[6:7], v[2:3], 1
	;; [unrolled: 1-line block ×3, first 2 shown]
	s_mov_b64 s[2:3], 0x3ff921fb54442d18
	v_dual_mul_f64 v[8:9], v[4:5], v[2:3] :: v_dual_mov_b32 v24, 0
	s_delay_alu instid0(VALU_DEP_3) | instskip(NEXT) | instid1(VALU_DEP_3)
	v_mul_f64_e32 v[10:11], v[6:7], v[2:3]
	v_mul_f64_e32 v[22:23], v[16:17], v[2:3]
	s_delay_alu instid0(VALU_DEP_3) | instskip(NEXT) | instid1(VALU_DEP_3)
	v_fma_f64 v[4:5], v[4:5], v[2:3], -v[8:9]
	v_fma_f64 v[6:7], v[6:7], v[2:3], -v[10:11]
	s_delay_alu instid0(VALU_DEP_3) | instskip(NEXT) | instid1(VALU_DEP_3)
	v_fma_f64 v[2:3], v[16:17], v[2:3], -v[22:23]
	v_add_f64_e32 v[12:13], v[10:11], v[4:5]
	s_delay_alu instid0(VALU_DEP_1) | instskip(SKIP_1) | instid1(VALU_DEP_2)
	v_add_f64_e64 v[14:15], v[12:13], -v[10:11]
	v_add_f64_e32 v[20:21], v[8:9], v[12:13]
	v_add_f64_e64 v[18:19], v[12:13], -v[14:15]
	v_add_f64_e64 v[4:5], v[4:5], -v[14:15]
	s_delay_alu instid0(VALU_DEP_3) | instskip(NEXT) | instid1(VALU_DEP_3)
	v_ldexp_f64 v[14:15], v[20:21], -2
	v_add_f64_e64 v[10:11], v[10:11], -v[18:19]
	v_add_f64_e32 v[18:19], v[22:23], v[6:7]
	s_delay_alu instid0(VALU_DEP_3) | instskip(NEXT) | instid1(VALU_DEP_3)
	v_cmp_neq_f64_e64 vcc_lo, 0x7ff00000, |v[14:15]|
	v_add_f64_e32 v[4:5], v[4:5], v[10:11]
	v_fract_f64_e32 v[10:11], v[14:15]
	s_delay_alu instid0(VALU_DEP_1) | instskip(NEXT) | instid1(VALU_DEP_1)
	v_ldexp_f64 v[10:11], v[10:11], 2
	v_dual_add_f64 v[8:9], v[20:21], -v[8:9] :: v_dual_cndmask_b32 v10, 0, v10, vcc_lo
	s_delay_alu instid0(VALU_DEP_1) | instskip(SKIP_1) | instid1(VALU_DEP_1)
	v_dual_add_f64 v[8:9], v[12:13], -v[8:9] :: v_dual_cndmask_b32 v11, 0, v11, vcc_lo
	v_add_f64_e32 v[12:13], v[18:19], v[4:5]
	v_add_f64_e32 v[14:15], v[8:9], v[12:13]
	v_add_f64_e64 v[26:27], v[12:13], -v[18:19]
	s_delay_alu instid0(VALU_DEP_2) | instskip(NEXT) | instid1(VALU_DEP_2)
	v_add_f64_e32 v[20:21], v[14:15], v[10:11]
	v_add_f64_e64 v[32:33], v[12:13], -v[26:27]
	v_add_f64_e64 v[4:5], v[4:5], -v[26:27]
	;; [unrolled: 1-line block ×3, first 2 shown]
	s_delay_alu instid0(VALU_DEP_4) | instskip(SKIP_1) | instid1(VALU_DEP_3)
	v_cmp_gt_f64_e32 vcc_lo, 0, v[20:21]
	v_add_f64_e64 v[20:21], v[18:19], -v[22:23]
	v_add_f64_e64 v[8:9], v[12:13], -v[8:9]
	v_cndmask_b32_e64 v25, 0, 0x40100000, vcc_lo
	s_delay_alu instid0(VALU_DEP_3) | instskip(SKIP_2) | instid1(VALU_DEP_4)
	v_add_f64_e64 v[30:31], v[18:19], -v[20:21]
	v_add_f64_e64 v[6:7], v[6:7], -v[20:21]
	;; [unrolled: 1-line block ×3, first 2 shown]
	v_add_f64_e32 v[10:11], v[10:11], v[24:25]
	s_delay_alu instid0(VALU_DEP_4) | instskip(NEXT) | instid1(VALU_DEP_3)
	v_add_f64_e64 v[20:21], v[22:23], -v[30:31]
	v_add_f64_e32 v[4:5], v[4:5], v[18:19]
	s_delay_alu instid0(VALU_DEP_3) | instskip(NEXT) | instid1(VALU_DEP_3)
	v_add_f64_e32 v[28:29], v[14:15], v[10:11]
	v_add_f64_e32 v[6:7], v[6:7], v[20:21]
	s_delay_alu instid0(VALU_DEP_2) | instskip(NEXT) | instid1(VALU_DEP_2)
	v_cvt_i32_f64_e32 v25, v[28:29]
	v_add_f64_e32 v[4:5], v[6:7], v[4:5]
	s_delay_alu instid0(VALU_DEP_2) | instskip(NEXT) | instid1(VALU_DEP_2)
	v_cvt_f64_i32_e32 v[26:27], v25
	v_add_f64_e32 v[2:3], v[2:3], v[4:5]
	s_delay_alu instid0(VALU_DEP_2) | instskip(NEXT) | instid1(VALU_DEP_2)
	v_add_f64_e64 v[10:11], v[10:11], -v[26:27]
	v_add_f64_e32 v[2:3], v[8:9], v[2:3]
	s_delay_alu instid0(VALU_DEP_2) | instskip(NEXT) | instid1(VALU_DEP_1)
	v_add_f64_e32 v[6:7], v[14:15], v[10:11]
	v_add_f64_e64 v[4:5], v[6:7], -v[10:11]
	v_cmp_le_f64_e32 vcc_lo, 0.5, v[6:7]
	s_delay_alu instid0(VALU_DEP_2) | instskip(SKIP_2) | instid1(VALU_DEP_3)
	v_add_f64_e64 v[4:5], v[14:15], -v[4:5]
	v_add_co_ci_u32_e64 v8, null, 0, v25, vcc_lo
	v_cndmask_b32_e64 v25, 0, 0x3ff00000, vcc_lo
	v_add_f64_e32 v[2:3], v[2:3], v[4:5]
	s_delay_alu instid0(VALU_DEP_2) | instskip(NEXT) | instid1(VALU_DEP_1)
	v_add_f64_e64 v[4:5], v[6:7], -v[24:25]
	v_add_f64_e32 v[6:7], v[4:5], v[2:3]
	s_delay_alu instid0(VALU_DEP_1) | instskip(SKIP_1) | instid1(VALU_DEP_2)
	v_mul_f64_e32 v[10:11], 0x3ff921fb54442d18, v[6:7]
	v_add_f64_e64 v[4:5], v[6:7], -v[4:5]
	v_fma_f64 v[12:13], v[6:7], s[2:3], -v[10:11]
	s_delay_alu instid0(VALU_DEP_2) | instskip(NEXT) | instid1(VALU_DEP_2)
	v_add_f64_e64 v[2:3], v[2:3], -v[4:5]
	v_fmamk_f64 v[6:7], v[6:7], 0x3c91a62633145c07, v[12:13]
	s_delay_alu instid0(VALU_DEP_1) | instskip(NEXT) | instid1(VALU_DEP_1)
	v_fmac_f64_e32 v[6:7], 0x3ff921fb54442d18, v[2:3]
	v_add_f64_e32 v[4:5], v[10:11], v[6:7]
	s_delay_alu instid0(VALU_DEP_1) | instskip(NEXT) | instid1(VALU_DEP_1)
	v_add_f64_e64 v[2:3], v[4:5], -v[10:11]
	v_add_f64_e64 v[6:7], v[6:7], -v[2:3]
                                        ; implicit-def: $vgpr2_vgpr3
.LBB26_11:
	s_and_not1_saveexec_b32 s0, s0
	s_cbranch_execz .LBB26_13
; %bb.12:
	s_delay_alu instid0(VALU_DEP_1) | instskip(NEXT) | instid1(VALU_DEP_1)
	v_mul_f64_e32 v[4:5], 0x3fe45f306dc9c883, v[2:3]
	v_rndne_f64_e32 v[8:9], v[4:5]
	s_delay_alu instid0(VALU_DEP_1) | instskip(SKIP_1) | instid1(VALU_DEP_1)
	v_mul_f64_e32 v[4:5], 0xbc91a62633145c00, v[8:9]
	v_fmamk_f64 v[2:3], v[8:9], 0xbff921fb54442d18, v[2:3]
	v_add_f64_e32 v[6:7], v[2:3], v[4:5]
	s_delay_alu instid0(VALU_DEP_1) | instskip(SKIP_1) | instid1(VALU_DEP_1)
	v_add_f64_e64 v[10:11], v[2:3], -v[6:7]
	v_fmamk_f64 v[2:3], v[8:9], 0xbc91a62633145c00, v[2:3]
	v_add_f64_e64 v[6:7], v[6:7], -v[2:3]
	s_delay_alu instid0(VALU_DEP_3) | instskip(SKIP_1) | instid1(VALU_DEP_2)
	v_add_f64_e32 v[10:11], v[10:11], v[4:5]
	v_fmamk_f64 v[4:5], v[8:9], 0x3c91a62633145c00, v[4:5]
	v_add_f64_e32 v[6:7], v[6:7], v[10:11]
	s_delay_alu instid0(VALU_DEP_1) | instskip(NEXT) | instid1(VALU_DEP_1)
	v_add_f64_e64 v[4:5], v[6:7], -v[4:5]
	v_fmamk_f64 v[6:7], v[8:9], 0xb97b839a252049c0, v[4:5]
	v_cvt_i32_f64_e32 v8, v[8:9]
	s_delay_alu instid0(VALU_DEP_2) | instskip(NEXT) | instid1(VALU_DEP_1)
	v_add_f64_e32 v[4:5], v[2:3], v[6:7]
	v_add_f64_e64 v[2:3], v[4:5], -v[2:3]
	s_delay_alu instid0(VALU_DEP_1)
	v_add_f64_e64 v[6:7], v[6:7], -v[2:3]
.LBB26_13:
	s_or_b32 exec_lo, exec_lo, s0
	v_mul_f64_e32 v[2:3], v[4:5], v[4:5]
	s_delay_alu instid0(VALU_DEP_2) | instskip(SKIP_2) | instid1(VALU_DEP_3)
	v_mul_f64_e32 v[16:17], 0.5, v[6:7]
	s_mov_b64 s[0:1], 0x3de5e0b2f9a43bb8
	v_lshl_add_u64 v[0:1], v[0:1], 1, s[12:13]
	v_mul_f64_e32 v[10:11], 0.5, v[2:3]
	v_mul_f64_e64 v[18:19], v[4:5], -v[2:3]
	v_fmaak_f64 v[20:21], s[0:1], v[2:3], 0xbe5ae600b42fdfa7
	s_mov_b64 s[0:1], 0xbda907db46cc5e42
	s_delay_alu instid0(VALU_DEP_1) | instskip(NEXT) | instid1(VALU_DEP_4)
	v_fmaak_f64 v[20:21], v[2:3], v[20:21], 0x3ec71de3796cde01
	v_add_f64_e64 v[12:13], -v[10:11], 1.0
	s_delay_alu instid0(VALU_DEP_1) | instskip(NEXT) | instid1(VALU_DEP_1)
	v_add_f64_e64 v[14:15], -v[12:13], 1.0
	v_add_f64_e64 v[10:11], v[14:15], -v[10:11]
	s_delay_alu instid0(VALU_DEP_4) | instskip(SKIP_1) | instid1(VALU_DEP_2)
	v_fmaak_f64 v[14:15], v[2:3], v[20:21], 0xbf2a01a019e83e5c
	v_mul_f64_e32 v[20:21], v[2:3], v[2:3]
	v_fmaak_f64 v[14:15], v[2:3], v[14:15], 0x3f81111111110bb3
	s_delay_alu instid0(VALU_DEP_1) | instskip(SKIP_1) | instid1(VALU_DEP_1)
	v_fmac_f64_e32 v[16:17], v[18:19], v[14:15]
	v_fmaak_f64 v[14:15], s[0:1], v[2:3], 0x3e21eeb69037ab78
	v_fmaak_f64 v[14:15], v[2:3], v[14:15], 0xbe927e4fa17f65f6
	s_delay_alu instid0(VALU_DEP_1) | instskip(SKIP_1) | instid1(VALU_DEP_2)
	v_fmaak_f64 v[14:15], v[2:3], v[14:15], 0x3efa01a019f4ec90
	v_fma_f64 v[10:11], v[4:5], -v[6:7], v[10:11]
	v_fmaak_f64 v[14:15], v[2:3], v[14:15], 0xbf56c16c16c16967
	v_fma_f64 v[6:7], v[2:3], v[16:17], -v[6:7]
	s_delay_alu instid0(VALU_DEP_2) | instskip(NEXT) | instid1(VALU_DEP_1)
	v_fmaak_f64 v[2:3], v[2:3], v[14:15], 0x3fa5555555555555
	v_fmac_f64_e32 v[10:11], v[20:21], v[2:3]
	s_delay_alu instid0(VALU_DEP_3) | instskip(SKIP_1) | instid1(VALU_DEP_1)
	v_fmamk_f64 v[2:3], v[18:19], 0xbfc5555555555555, v[6:7]
	v_and_b32_e32 v6, 1, v8
	v_cmp_eq_u32_e32 vcc_lo, 0, v6
	s_delay_alu instid0(VALU_DEP_3) | instskip(SKIP_1) | instid1(VALU_DEP_2)
	v_dual_add_f64 v[2:3], v[4:5], -v[2:3] :: v_dual_lshlrev_b32 v6, 30, v8
	v_add_f64_e32 v[4:5], v[12:13], v[10:11]
	v_xor_b32_e32 v3, 0x80000000, v3
	s_delay_alu instid0(VALU_DEP_1) | instskip(NEXT) | instid1(VALU_DEP_1)
	v_dual_cndmask_b32 v3, v3, v5 :: v_dual_cndmask_b32 v2, v2, v4
	v_bitop3_b32 v4, v3, v6, 0x80000000 bitop3:0x78
	v_lshrrev_b32_e32 v5, 8, v3
	v_bfe_u32 v3, v3, 20, 11
	s_delay_alu instid0(VALU_DEP_3) | instskip(SKIP_1) | instid1(VALU_DEP_3)
	v_and_or_b32 v2, 0x1ff, v4, v2
	v_lshrrev_b32_e32 v4, 16, v4
	v_sub_nc_u32_e32 v6, 0x3f1, v3
	v_add_nc_u32_e32 v3, 0xfffffc10, v3
	s_delay_alu instid0(VALU_DEP_4) | instskip(SKIP_1) | instid1(VALU_DEP_1)
	v_cmp_ne_u32_e32 vcc_lo, 0, v2
	v_cndmask_b32_e64 v2, 0, 1, vcc_lo
	v_and_or_b32 v2, 0xffe, v5, v2
	v_med3_i32 v5, v6, 0, 13
	s_delay_alu instid0(VALU_DEP_2) | instskip(NEXT) | instid1(VALU_DEP_1)
	v_or_b32_e32 v6, 0x1000, v2
	v_lshrrev_b32_e32 v7, v5, v6
	s_delay_alu instid0(VALU_DEP_1) | instskip(NEXT) | instid1(VALU_DEP_1)
	v_lshlrev_b32_e32 v5, v5, v7
	v_cmp_ne_u32_e32 vcc_lo, v5, v6
	v_lshl_or_b32 v6, v3, 12, v2
	v_cndmask_b32_e64 v5, 0, 1, vcc_lo
	v_cmp_gt_i32_e32 vcc_lo, 1, v3
	s_delay_alu instid0(VALU_DEP_2) | instskip(NEXT) | instid1(VALU_DEP_1)
	v_or_b32_e32 v5, v7, v5
	v_cndmask_b32_e32 v5, v6, v5, vcc_lo
	s_delay_alu instid0(VALU_DEP_1) | instskip(NEXT) | instid1(VALU_DEP_1)
	v_dual_lshrrev_b32 v5, 2, v5 :: v_dual_bitop2_b32 v6, 7, v5 bitop3:0x40
	v_cmp_lt_i32_e32 vcc_lo, 5, v6
	v_cndmask_b32_e64 v7, 0, 1, vcc_lo
	v_cmp_eq_u32_e32 vcc_lo, 3, v6
	v_cndmask_b32_e64 v6, 0, 1, vcc_lo
	v_cmp_ne_u32_e32 vcc_lo, 0, v2
	s_delay_alu instid0(VALU_DEP_2) | instskip(SKIP_1) | instid1(VALU_DEP_1)
	v_or_b32_e32 v6, v6, v7
	v_mov_b32_e32 v7, 0x7e00
	v_dual_cndmask_b32 v2, 0x7c00, v7 :: v_dual_add_nc_u32 v5, v5, v6
	v_cmp_gt_i32_e32 vcc_lo, 31, v3
	s_delay_alu instid0(VALU_DEP_2) | instskip(SKIP_1) | instid1(VALU_DEP_2)
	v_cndmask_b32_e32 v5, 0x7c00, v5, vcc_lo
	v_cmp_eq_u32_e32 vcc_lo, 0x40f, v3
	v_cndmask_b32_e32 v2, v5, v2, vcc_lo
	s_delay_alu instid0(VALU_DEP_1)
	v_and_or_b32 v2, 0x8000, v4, v2
	global_store_b16 v[0:1], v2, off
.LBB26_14:
	s_endpgm
	.section	.rodata,"a",@progbits
	.p2align	6, 0x0
	.amdhsa_kernel _Z11fill_kernelIDF16_Z21hipblaslt_init_deviceIDF16_Ev8ABC_dims24hipblaslt_initializationbPT_mmmmmEUlmE3_EvS4_mmT0_
		.amdhsa_group_segment_fixed_size 0
		.amdhsa_private_segment_fixed_size 0
		.amdhsa_kernarg_size 312
		.amdhsa_user_sgpr_count 2
		.amdhsa_user_sgpr_dispatch_ptr 0
		.amdhsa_user_sgpr_queue_ptr 0
		.amdhsa_user_sgpr_kernarg_segment_ptr 1
		.amdhsa_user_sgpr_dispatch_id 0
		.amdhsa_user_sgpr_kernarg_preload_length 0
		.amdhsa_user_sgpr_kernarg_preload_offset 0
		.amdhsa_user_sgpr_private_segment_size 0
		.amdhsa_wavefront_size32 1
		.amdhsa_uses_dynamic_stack 0
		.amdhsa_enable_private_segment 0
		.amdhsa_system_sgpr_workgroup_id_x 1
		.amdhsa_system_sgpr_workgroup_id_y 0
		.amdhsa_system_sgpr_workgroup_id_z 0
		.amdhsa_system_sgpr_workgroup_info 0
		.amdhsa_system_vgpr_workitem_id 0
		.amdhsa_next_free_vgpr 34
		.amdhsa_next_free_sgpr 24
		.amdhsa_named_barrier_count 0
		.amdhsa_reserve_vcc 1
		.amdhsa_float_round_mode_32 0
		.amdhsa_float_round_mode_16_64 0
		.amdhsa_float_denorm_mode_32 3
		.amdhsa_float_denorm_mode_16_64 3
		.amdhsa_fp16_overflow 0
		.amdhsa_memory_ordered 1
		.amdhsa_forward_progress 1
		.amdhsa_inst_pref_size 24
		.amdhsa_round_robin_scheduling 0
		.amdhsa_exception_fp_ieee_invalid_op 0
		.amdhsa_exception_fp_denorm_src 0
		.amdhsa_exception_fp_ieee_div_zero 0
		.amdhsa_exception_fp_ieee_overflow 0
		.amdhsa_exception_fp_ieee_underflow 0
		.amdhsa_exception_fp_ieee_inexact 0
		.amdhsa_exception_int_div_zero 0
	.end_amdhsa_kernel
	.section	.text._Z11fill_kernelIDF16_Z21hipblaslt_init_deviceIDF16_Ev8ABC_dims24hipblaslt_initializationbPT_mmmmmEUlmE3_EvS4_mmT0_,"axG",@progbits,_Z11fill_kernelIDF16_Z21hipblaslt_init_deviceIDF16_Ev8ABC_dims24hipblaslt_initializationbPT_mmmmmEUlmE3_EvS4_mmT0_,comdat
.Lfunc_end26:
	.size	_Z11fill_kernelIDF16_Z21hipblaslt_init_deviceIDF16_Ev8ABC_dims24hipblaslt_initializationbPT_mmmmmEUlmE3_EvS4_mmT0_, .Lfunc_end26-_Z11fill_kernelIDF16_Z21hipblaslt_init_deviceIDF16_Ev8ABC_dims24hipblaslt_initializationbPT_mmmmmEUlmE3_EvS4_mmT0_
                                        ; -- End function
	.set _Z11fill_kernelIDF16_Z21hipblaslt_init_deviceIDF16_Ev8ABC_dims24hipblaslt_initializationbPT_mmmmmEUlmE3_EvS4_mmT0_.num_vgpr, 34
	.set _Z11fill_kernelIDF16_Z21hipblaslt_init_deviceIDF16_Ev8ABC_dims24hipblaslt_initializationbPT_mmmmmEUlmE3_EvS4_mmT0_.num_agpr, 0
	.set _Z11fill_kernelIDF16_Z21hipblaslt_init_deviceIDF16_Ev8ABC_dims24hipblaslt_initializationbPT_mmmmmEUlmE3_EvS4_mmT0_.numbered_sgpr, 24
	.set _Z11fill_kernelIDF16_Z21hipblaslt_init_deviceIDF16_Ev8ABC_dims24hipblaslt_initializationbPT_mmmmmEUlmE3_EvS4_mmT0_.num_named_barrier, 0
	.set _Z11fill_kernelIDF16_Z21hipblaslt_init_deviceIDF16_Ev8ABC_dims24hipblaslt_initializationbPT_mmmmmEUlmE3_EvS4_mmT0_.private_seg_size, 0
	.set _Z11fill_kernelIDF16_Z21hipblaslt_init_deviceIDF16_Ev8ABC_dims24hipblaslt_initializationbPT_mmmmmEUlmE3_EvS4_mmT0_.uses_vcc, 1
	.set _Z11fill_kernelIDF16_Z21hipblaslt_init_deviceIDF16_Ev8ABC_dims24hipblaslt_initializationbPT_mmmmmEUlmE3_EvS4_mmT0_.uses_flat_scratch, 0
	.set _Z11fill_kernelIDF16_Z21hipblaslt_init_deviceIDF16_Ev8ABC_dims24hipblaslt_initializationbPT_mmmmmEUlmE3_EvS4_mmT0_.has_dyn_sized_stack, 0
	.set _Z11fill_kernelIDF16_Z21hipblaslt_init_deviceIDF16_Ev8ABC_dims24hipblaslt_initializationbPT_mmmmmEUlmE3_EvS4_mmT0_.has_recursion, 0
	.set _Z11fill_kernelIDF16_Z21hipblaslt_init_deviceIDF16_Ev8ABC_dims24hipblaslt_initializationbPT_mmmmmEUlmE3_EvS4_mmT0_.has_indirect_call, 0
	.section	.AMDGPU.csdata,"",@progbits
; Kernel info:
; codeLenInByte = 3004
; TotalNumSgprs: 26
; NumVgprs: 34
; ScratchSize: 0
; MemoryBound: 0
; FloatMode: 240
; IeeeMode: 1
; LDSByteSize: 0 bytes/workgroup (compile time only)
; SGPRBlocks: 0
; VGPRBlocks: 2
; NumSGPRsForWavesPerEU: 26
; NumVGPRsForWavesPerEU: 34
; NamedBarCnt: 0
; Occupancy: 16
; WaveLimiterHint : 0
; COMPUTE_PGM_RSRC2:SCRATCH_EN: 0
; COMPUTE_PGM_RSRC2:USER_SGPR: 2
; COMPUTE_PGM_RSRC2:TRAP_HANDLER: 0
; COMPUTE_PGM_RSRC2:TGID_X_EN: 1
; COMPUTE_PGM_RSRC2:TGID_Y_EN: 0
; COMPUTE_PGM_RSRC2:TGID_Z_EN: 0
; COMPUTE_PGM_RSRC2:TIDIG_COMP_CNT: 0
	.section	.text._Z11fill_kernelIDF16_Z21hipblaslt_init_deviceIDF16_Ev8ABC_dims24hipblaslt_initializationbPT_mmmmmEUlmE4_EvS4_mmT0_,"axG",@progbits,_Z11fill_kernelIDF16_Z21hipblaslt_init_deviceIDF16_Ev8ABC_dims24hipblaslt_initializationbPT_mmmmmEUlmE4_EvS4_mmT0_,comdat
	.protected	_Z11fill_kernelIDF16_Z21hipblaslt_init_deviceIDF16_Ev8ABC_dims24hipblaslt_initializationbPT_mmmmmEUlmE4_EvS4_mmT0_ ; -- Begin function _Z11fill_kernelIDF16_Z21hipblaslt_init_deviceIDF16_Ev8ABC_dims24hipblaslt_initializationbPT_mmmmmEUlmE4_EvS4_mmT0_
	.globl	_Z11fill_kernelIDF16_Z21hipblaslt_init_deviceIDF16_Ev8ABC_dims24hipblaslt_initializationbPT_mmmmmEUlmE4_EvS4_mmT0_
	.p2align	8
	.type	_Z11fill_kernelIDF16_Z21hipblaslt_init_deviceIDF16_Ev8ABC_dims24hipblaslt_initializationbPT_mmmmmEUlmE4_EvS4_mmT0_,@function
_Z11fill_kernelIDF16_Z21hipblaslt_init_deviceIDF16_Ev8ABC_dims24hipblaslt_initializationbPT_mmmmmEUlmE4_EvS4_mmT0_: ; @_Z11fill_kernelIDF16_Z21hipblaslt_init_deviceIDF16_Ev8ABC_dims24hipblaslt_initializationbPT_mmmmmEUlmE4_EvS4_mmT0_
; %bb.0:
	s_clause 0x1
	s_load_b32 s2, s[0:1], 0x2c
	s_load_b128 s[4:7], s[0:1], 0x0
	s_bfe_u32 s3, ttmp6, 0x4000c
	s_and_b32 s8, ttmp6, 15
	s_add_co_i32 s3, s3, 1
	s_getreg_b32 s9, hwreg(HW_REG_IB_STS2, 6, 4)
	s_mul_i32 s3, ttmp9, s3
	v_mov_b32_e32 v1, 0
	s_add_co_i32 s8, s8, s3
	s_wait_kmcnt 0x0
	s_and_b32 s2, s2, 0xffff
	s_cmp_eq_u32 s9, 0
	s_cselect_b32 s3, ttmp9, s8
	s_delay_alu instid0(SALU_CYCLE_1) | instskip(SKIP_1) | instid1(VALU_DEP_1)
	v_mad_u32 v0, s3, s2, v0
	s_mov_b32 s2, exec_lo
	v_cmpx_gt_u64_e64 s[6:7], v[0:1]
	s_cbranch_execz .LBB27_2
; %bb.1:
	s_load_b64 s[0:1], s[0:1], 0x10
	s_wait_kmcnt 0x0
	v_add_nc_u64_e32 v[0:1], s[0:1], v[0:1]
	s_mov_b32 s0, 0x19660d
	s_delay_alu instid0(VALU_DEP_1) | instid1(SALU_CYCLE_1)
	v_mad_nc_u64_u32 v[2:3], v0, s0, 0x3c6ef35f
	s_mov_b64 s[0:1], 0x41efffffffe00000
	s_delay_alu instid0(VALU_DEP_1) | instskip(SKIP_1) | instid1(VALU_DEP_2)
	v_mad_u32 v3, 0x19660d, v1, v3
	v_lshl_add_u64 v[0:1], v[0:1], 1, s[4:5]
	v_lshlrev_b64_e32 v[4:5], 13, v[2:3]
	s_delay_alu instid0(VALU_DEP_1) | instskip(NEXT) | instid1(VALU_DEP_2)
	v_xor_b32_e32 v3, v5, v3
	v_xor_b32_e32 v2, v4, v2
	s_delay_alu instid0(VALU_DEP_1) | instskip(NEXT) | instid1(VALU_DEP_1)
	v_lshrrev_b64 v[4:5], 17, v[2:3]
	v_xor_b32_e32 v3, v5, v3
	s_delay_alu instid0(VALU_DEP_2) | instskip(NEXT) | instid1(VALU_DEP_1)
	v_xor_b32_e32 v2, v4, v2
	v_lshlrev_b64_e32 v[4:5], 5, v[2:3]
	s_delay_alu instid0(VALU_DEP_1) | instskip(NEXT) | instid1(VALU_DEP_2)
	v_xor_b32_e32 v3, v5, v3
	v_xor_b32_e32 v2, v4, v2
	s_delay_alu instid0(VALU_DEP_1) | instskip(NEXT) | instid1(VALU_DEP_1)
	v_lshlrev_b64_e32 v[4:5], 13, v[2:3]
	v_xor_b32_e32 v3, v5, v3
	s_delay_alu instid0(VALU_DEP_2) | instskip(NEXT) | instid1(VALU_DEP_1)
	v_xor_b32_e32 v2, v4, v2
	v_lshrrev_b64 v[4:5], 17, v[2:3]
	s_delay_alu instid0(VALU_DEP_1) | instskip(NEXT) | instid1(VALU_DEP_2)
	v_xor_b32_e32 v3, v5, v3
	v_xor_b32_e32 v2, v4, v2
	s_delay_alu instid0(VALU_DEP_1) | instskip(NEXT) | instid1(VALU_DEP_1)
	v_lshlrev_b64_e32 v[4:5], 5, v[2:3]
	v_xor_b32_e32 v3, v5, v3
	s_delay_alu instid0(VALU_DEP_2) | instskip(NEXT) | instid1(VALU_DEP_1)
	v_xor_b32_e32 v2, v4, v2
	v_lshlrev_b64_e32 v[4:5], 13, v[2:3]
	s_delay_alu instid0(VALU_DEP_1) | instskip(NEXT) | instid1(VALU_DEP_2)
	v_xor_b32_e32 v3, v5, v3
	v_xor_b32_e32 v2, v4, v2
	s_delay_alu instid0(VALU_DEP_1) | instskip(NEXT) | instid1(VALU_DEP_1)
	v_alignbit_b32 v3, v3, v2, 17
	v_xor_b32_e32 v2, v3, v2
	s_delay_alu instid0(VALU_DEP_1) | instskip(NEXT) | instid1(VALU_DEP_1)
	v_lshlrev_b32_e32 v3, 5, v2
	v_xor_b32_e32 v2, v3, v2
	s_delay_alu instid0(VALU_DEP_1) | instskip(NEXT) | instid1(VALU_DEP_1)
	v_cvt_f64_u32_e32 v[2:3], v2
	v_div_scale_f64 v[4:5], null, s[0:1], s[0:1], v[2:3]
	v_div_scale_f64 v[10:11], vcc_lo, v[2:3], s[0:1], v[2:3]
	s_delay_alu instid0(VALU_DEP_2) | instskip(SKIP_1) | instid1(TRANS32_DEP_1)
	v_rcp_f64_e32 v[6:7], v[4:5]
	v_nop
	v_fma_f64 v[8:9], -v[4:5], v[6:7], 1.0
	s_delay_alu instid0(VALU_DEP_1) | instskip(NEXT) | instid1(VALU_DEP_1)
	v_fmac_f64_e32 v[6:7], v[6:7], v[8:9]
	v_fma_f64 v[8:9], -v[4:5], v[6:7], 1.0
	s_delay_alu instid0(VALU_DEP_1) | instskip(NEXT) | instid1(VALU_DEP_1)
	v_fmac_f64_e32 v[6:7], v[6:7], v[8:9]
	v_mul_f64_e32 v[8:9], v[10:11], v[6:7]
	s_delay_alu instid0(VALU_DEP_1) | instskip(NEXT) | instid1(VALU_DEP_1)
	v_fma_f64 v[4:5], -v[4:5], v[8:9], v[10:11]
	v_div_fmas_f64 v[4:5], v[4:5], v[6:7], v[8:9]
	s_delay_alu instid0(VALU_DEP_1) | instskip(NEXT) | instid1(VALU_DEP_1)
	v_div_fixup_f64 v[2:3], v[4:5], s[0:1], v[2:3]
	v_add_f64_e32 v[2:3], -0.5, v[2:3]
	s_delay_alu instid0(VALU_DEP_1) | instskip(SKIP_3) | instid1(VALU_DEP_4)
	v_and_or_b32 v2, 0x1ff, v3, v2
	v_lshrrev_b32_e32 v4, 8, v3
	v_bfe_u32 v5, v3, 20, 11
	v_lshrrev_b32_e32 v3, 16, v3
	v_cmp_ne_u32_e32 vcc_lo, 0, v2
	s_delay_alu instid0(VALU_DEP_3) | instskip(SKIP_2) | instid1(VALU_DEP_1)
	v_sub_nc_u32_e32 v6, 0x3f1, v5
	v_add_nc_u32_e32 v5, 0xfffffc10, v5
	v_cndmask_b32_e64 v2, 0, 1, vcc_lo
	v_and_or_b32 v2, 0xffe, v4, v2
	s_delay_alu instid0(VALU_DEP_4) | instskip(NEXT) | instid1(VALU_DEP_2)
	v_med3_i32 v4, v6, 0, 13
	v_or_b32_e32 v6, 0x1000, v2
	s_delay_alu instid0(VALU_DEP_1) | instskip(NEXT) | instid1(VALU_DEP_1)
	v_lshrrev_b32_e32 v7, v4, v6
	v_lshlrev_b32_e32 v4, v4, v7
	s_delay_alu instid0(VALU_DEP_1) | instskip(SKIP_3) | instid1(VALU_DEP_2)
	v_cmp_ne_u32_e32 vcc_lo, v4, v6
	v_lshl_or_b32 v6, v5, 12, v2
	v_cndmask_b32_e64 v4, 0, 1, vcc_lo
	v_cmp_gt_i32_e32 vcc_lo, 1, v5
	v_or_b32_e32 v4, v7, v4
	s_delay_alu instid0(VALU_DEP_1) | instskip(NEXT) | instid1(VALU_DEP_1)
	v_cndmask_b32_e32 v4, v6, v4, vcc_lo
	v_dual_lshrrev_b32 v4, 2, v4 :: v_dual_bitop2_b32 v6, 7, v4 bitop3:0x40
	s_delay_alu instid0(VALU_DEP_1) | instskip(SKIP_4) | instid1(VALU_DEP_2)
	v_cmp_lt_i32_e32 vcc_lo, 5, v6
	v_cndmask_b32_e64 v7, 0, 1, vcc_lo
	v_cmp_eq_u32_e32 vcc_lo, 3, v6
	v_cndmask_b32_e64 v6, 0, 1, vcc_lo
	v_cmp_ne_u32_e32 vcc_lo, 0, v2
	v_or_b32_e32 v6, v6, v7
	s_delay_alu instid0(VALU_DEP_1) | instskip(NEXT) | instid1(VALU_DEP_1)
	v_dual_mov_b32 v7, 0x7e00 :: v_dual_add_nc_u32 v4, v4, v6
	v_cndmask_b32_e32 v2, 0x7c00, v7, vcc_lo
	v_cmp_gt_i32_e32 vcc_lo, 31, v5
	s_delay_alu instid0(VALU_DEP_3) | instskip(SKIP_1) | instid1(VALU_DEP_2)
	v_cndmask_b32_e32 v4, 0x7c00, v4, vcc_lo
	v_cmp_eq_u32_e32 vcc_lo, 0x40f, v5
	v_cndmask_b32_e32 v2, v4, v2, vcc_lo
	s_delay_alu instid0(VALU_DEP_1)
	v_and_or_b32 v2, 0x8000, v3, v2
	global_store_b16 v[0:1], v2, off
.LBB27_2:
	s_endpgm
	.section	.rodata,"a",@progbits
	.p2align	6, 0x0
	.amdhsa_kernel _Z11fill_kernelIDF16_Z21hipblaslt_init_deviceIDF16_Ev8ABC_dims24hipblaslt_initializationbPT_mmmmmEUlmE4_EvS4_mmT0_
		.amdhsa_group_segment_fixed_size 0
		.amdhsa_private_segment_fixed_size 0
		.amdhsa_kernarg_size 288
		.amdhsa_user_sgpr_count 2
		.amdhsa_user_sgpr_dispatch_ptr 0
		.amdhsa_user_sgpr_queue_ptr 0
		.amdhsa_user_sgpr_kernarg_segment_ptr 1
		.amdhsa_user_sgpr_dispatch_id 0
		.amdhsa_user_sgpr_kernarg_preload_length 0
		.amdhsa_user_sgpr_kernarg_preload_offset 0
		.amdhsa_user_sgpr_private_segment_size 0
		.amdhsa_wavefront_size32 1
		.amdhsa_uses_dynamic_stack 0
		.amdhsa_enable_private_segment 0
		.amdhsa_system_sgpr_workgroup_id_x 1
		.amdhsa_system_sgpr_workgroup_id_y 0
		.amdhsa_system_sgpr_workgroup_id_z 0
		.amdhsa_system_sgpr_workgroup_info 0
		.amdhsa_system_vgpr_workitem_id 0
		.amdhsa_next_free_vgpr 12
		.amdhsa_next_free_sgpr 10
		.amdhsa_named_barrier_count 0
		.amdhsa_reserve_vcc 1
		.amdhsa_float_round_mode_32 0
		.amdhsa_float_round_mode_16_64 0
		.amdhsa_float_denorm_mode_32 3
		.amdhsa_float_denorm_mode_16_64 3
		.amdhsa_fp16_overflow 0
		.amdhsa_memory_ordered 1
		.amdhsa_forward_progress 1
		.amdhsa_inst_pref_size 6
		.amdhsa_round_robin_scheduling 0
		.amdhsa_exception_fp_ieee_invalid_op 0
		.amdhsa_exception_fp_denorm_src 0
		.amdhsa_exception_fp_ieee_div_zero 0
		.amdhsa_exception_fp_ieee_overflow 0
		.amdhsa_exception_fp_ieee_underflow 0
		.amdhsa_exception_fp_ieee_inexact 0
		.amdhsa_exception_int_div_zero 0
	.end_amdhsa_kernel
	.section	.text._Z11fill_kernelIDF16_Z21hipblaslt_init_deviceIDF16_Ev8ABC_dims24hipblaslt_initializationbPT_mmmmmEUlmE4_EvS4_mmT0_,"axG",@progbits,_Z11fill_kernelIDF16_Z21hipblaslt_init_deviceIDF16_Ev8ABC_dims24hipblaslt_initializationbPT_mmmmmEUlmE4_EvS4_mmT0_,comdat
.Lfunc_end27:
	.size	_Z11fill_kernelIDF16_Z21hipblaslt_init_deviceIDF16_Ev8ABC_dims24hipblaslt_initializationbPT_mmmmmEUlmE4_EvS4_mmT0_, .Lfunc_end27-_Z11fill_kernelIDF16_Z21hipblaslt_init_deviceIDF16_Ev8ABC_dims24hipblaslt_initializationbPT_mmmmmEUlmE4_EvS4_mmT0_
                                        ; -- End function
	.set _Z11fill_kernelIDF16_Z21hipblaslt_init_deviceIDF16_Ev8ABC_dims24hipblaslt_initializationbPT_mmmmmEUlmE4_EvS4_mmT0_.num_vgpr, 12
	.set _Z11fill_kernelIDF16_Z21hipblaslt_init_deviceIDF16_Ev8ABC_dims24hipblaslt_initializationbPT_mmmmmEUlmE4_EvS4_mmT0_.num_agpr, 0
	.set _Z11fill_kernelIDF16_Z21hipblaslt_init_deviceIDF16_Ev8ABC_dims24hipblaslt_initializationbPT_mmmmmEUlmE4_EvS4_mmT0_.numbered_sgpr, 10
	.set _Z11fill_kernelIDF16_Z21hipblaslt_init_deviceIDF16_Ev8ABC_dims24hipblaslt_initializationbPT_mmmmmEUlmE4_EvS4_mmT0_.num_named_barrier, 0
	.set _Z11fill_kernelIDF16_Z21hipblaslt_init_deviceIDF16_Ev8ABC_dims24hipblaslt_initializationbPT_mmmmmEUlmE4_EvS4_mmT0_.private_seg_size, 0
	.set _Z11fill_kernelIDF16_Z21hipblaslt_init_deviceIDF16_Ev8ABC_dims24hipblaslt_initializationbPT_mmmmmEUlmE4_EvS4_mmT0_.uses_vcc, 1
	.set _Z11fill_kernelIDF16_Z21hipblaslt_init_deviceIDF16_Ev8ABC_dims24hipblaslt_initializationbPT_mmmmmEUlmE4_EvS4_mmT0_.uses_flat_scratch, 0
	.set _Z11fill_kernelIDF16_Z21hipblaslt_init_deviceIDF16_Ev8ABC_dims24hipblaslt_initializationbPT_mmmmmEUlmE4_EvS4_mmT0_.has_dyn_sized_stack, 0
	.set _Z11fill_kernelIDF16_Z21hipblaslt_init_deviceIDF16_Ev8ABC_dims24hipblaslt_initializationbPT_mmmmmEUlmE4_EvS4_mmT0_.has_recursion, 0
	.set _Z11fill_kernelIDF16_Z21hipblaslt_init_deviceIDF16_Ev8ABC_dims24hipblaslt_initializationbPT_mmmmmEUlmE4_EvS4_mmT0_.has_indirect_call, 0
	.section	.AMDGPU.csdata,"",@progbits
; Kernel info:
; codeLenInByte = 724
; TotalNumSgprs: 12
; NumVgprs: 12
; ScratchSize: 0
; MemoryBound: 0
; FloatMode: 240
; IeeeMode: 1
; LDSByteSize: 0 bytes/workgroup (compile time only)
; SGPRBlocks: 0
; VGPRBlocks: 0
; NumSGPRsForWavesPerEU: 12
; NumVGPRsForWavesPerEU: 12
; NamedBarCnt: 0
; Occupancy: 16
; WaveLimiterHint : 0
; COMPUTE_PGM_RSRC2:SCRATCH_EN: 0
; COMPUTE_PGM_RSRC2:USER_SGPR: 2
; COMPUTE_PGM_RSRC2:TRAP_HANDLER: 0
; COMPUTE_PGM_RSRC2:TGID_X_EN: 1
; COMPUTE_PGM_RSRC2:TGID_Y_EN: 0
; COMPUTE_PGM_RSRC2:TGID_Z_EN: 0
; COMPUTE_PGM_RSRC2:TIDIG_COMP_CNT: 0
	.section	.text._Z11fill_kernelIDF16_Z21hipblaslt_init_deviceIDF16_Ev8ABC_dims24hipblaslt_initializationbPT_mmmmmEUlmE5_EvS4_mmT0_,"axG",@progbits,_Z11fill_kernelIDF16_Z21hipblaslt_init_deviceIDF16_Ev8ABC_dims24hipblaslt_initializationbPT_mmmmmEUlmE5_EvS4_mmT0_,comdat
	.protected	_Z11fill_kernelIDF16_Z21hipblaslt_init_deviceIDF16_Ev8ABC_dims24hipblaslt_initializationbPT_mmmmmEUlmE5_EvS4_mmT0_ ; -- Begin function _Z11fill_kernelIDF16_Z21hipblaslt_init_deviceIDF16_Ev8ABC_dims24hipblaslt_initializationbPT_mmmmmEUlmE5_EvS4_mmT0_
	.globl	_Z11fill_kernelIDF16_Z21hipblaslt_init_deviceIDF16_Ev8ABC_dims24hipblaslt_initializationbPT_mmmmmEUlmE5_EvS4_mmT0_
	.p2align	8
	.type	_Z11fill_kernelIDF16_Z21hipblaslt_init_deviceIDF16_Ev8ABC_dims24hipblaslt_initializationbPT_mmmmmEUlmE5_EvS4_mmT0_,@function
_Z11fill_kernelIDF16_Z21hipblaslt_init_deviceIDF16_Ev8ABC_dims24hipblaslt_initializationbPT_mmmmmEUlmE5_EvS4_mmT0_: ; @_Z11fill_kernelIDF16_Z21hipblaslt_init_deviceIDF16_Ev8ABC_dims24hipblaslt_initializationbPT_mmmmmEUlmE5_EvS4_mmT0_
; %bb.0:
	s_clause 0x1
	s_load_b32 s2, s[0:1], 0x2c
	s_load_b128 s[4:7], s[0:1], 0x0
	s_bfe_u32 s3, ttmp6, 0x4000c
	s_and_b32 s8, ttmp6, 15
	s_add_co_i32 s3, s3, 1
	s_getreg_b32 s9, hwreg(HW_REG_IB_STS2, 6, 4)
	s_mul_i32 s3, ttmp9, s3
	v_mov_b32_e32 v1, 0
	s_add_co_i32 s8, s8, s3
	s_wait_kmcnt 0x0
	s_and_b32 s2, s2, 0xffff
	s_cmp_eq_u32 s9, 0
	s_cselect_b32 s3, ttmp9, s8
	s_delay_alu instid0(SALU_CYCLE_1) | instskip(SKIP_1) | instid1(VALU_DEP_1)
	v_mad_u32 v0, s3, s2, v0
	s_mov_b32 s2, exec_lo
	v_cmpx_gt_u64_e64 s[6:7], v[0:1]
	s_cbranch_execz .LBB28_2
; %bb.1:
	s_load_b64 s[0:1], s[0:1], 0x10
	v_mov_b32_e32 v2, 0x7bf8
	s_wait_kmcnt 0x0
	s_lshl_b64 s[0:1], s[0:1], 1
	s_delay_alu instid0(SALU_CYCLE_1) | instskip(NEXT) | instid1(SALU_CYCLE_1)
	s_add_nc_u64 s[0:1], s[4:5], s[0:1]
	v_lshl_add_u64 v[0:1], v[0:1], 1, s[0:1]
	global_store_b16 v[0:1], v2, off
.LBB28_2:
	s_endpgm
	.section	.rodata,"a",@progbits
	.p2align	6, 0x0
	.amdhsa_kernel _Z11fill_kernelIDF16_Z21hipblaslt_init_deviceIDF16_Ev8ABC_dims24hipblaslt_initializationbPT_mmmmmEUlmE5_EvS4_mmT0_
		.amdhsa_group_segment_fixed_size 0
		.amdhsa_private_segment_fixed_size 0
		.amdhsa_kernarg_size 288
		.amdhsa_user_sgpr_count 2
		.amdhsa_user_sgpr_dispatch_ptr 0
		.amdhsa_user_sgpr_queue_ptr 0
		.amdhsa_user_sgpr_kernarg_segment_ptr 1
		.amdhsa_user_sgpr_dispatch_id 0
		.amdhsa_user_sgpr_kernarg_preload_length 0
		.amdhsa_user_sgpr_kernarg_preload_offset 0
		.amdhsa_user_sgpr_private_segment_size 0
		.amdhsa_wavefront_size32 1
		.amdhsa_uses_dynamic_stack 0
		.amdhsa_enable_private_segment 0
		.amdhsa_system_sgpr_workgroup_id_x 1
		.amdhsa_system_sgpr_workgroup_id_y 0
		.amdhsa_system_sgpr_workgroup_id_z 0
		.amdhsa_system_sgpr_workgroup_info 0
		.amdhsa_system_vgpr_workitem_id 0
		.amdhsa_next_free_vgpr 3
		.amdhsa_next_free_sgpr 10
		.amdhsa_named_barrier_count 0
		.amdhsa_reserve_vcc 0
		.amdhsa_float_round_mode_32 0
		.amdhsa_float_round_mode_16_64 0
		.amdhsa_float_denorm_mode_32 3
		.amdhsa_float_denorm_mode_16_64 3
		.amdhsa_fp16_overflow 0
		.amdhsa_memory_ordered 1
		.amdhsa_forward_progress 1
		.amdhsa_inst_pref_size 2
		.amdhsa_round_robin_scheduling 0
		.amdhsa_exception_fp_ieee_invalid_op 0
		.amdhsa_exception_fp_denorm_src 0
		.amdhsa_exception_fp_ieee_div_zero 0
		.amdhsa_exception_fp_ieee_overflow 0
		.amdhsa_exception_fp_ieee_underflow 0
		.amdhsa_exception_fp_ieee_inexact 0
		.amdhsa_exception_int_div_zero 0
	.end_amdhsa_kernel
	.section	.text._Z11fill_kernelIDF16_Z21hipblaslt_init_deviceIDF16_Ev8ABC_dims24hipblaslt_initializationbPT_mmmmmEUlmE5_EvS4_mmT0_,"axG",@progbits,_Z11fill_kernelIDF16_Z21hipblaslt_init_deviceIDF16_Ev8ABC_dims24hipblaslt_initializationbPT_mmmmmEUlmE5_EvS4_mmT0_,comdat
.Lfunc_end28:
	.size	_Z11fill_kernelIDF16_Z21hipblaslt_init_deviceIDF16_Ev8ABC_dims24hipblaslt_initializationbPT_mmmmmEUlmE5_EvS4_mmT0_, .Lfunc_end28-_Z11fill_kernelIDF16_Z21hipblaslt_init_deviceIDF16_Ev8ABC_dims24hipblaslt_initializationbPT_mmmmmEUlmE5_EvS4_mmT0_
                                        ; -- End function
	.set _Z11fill_kernelIDF16_Z21hipblaslt_init_deviceIDF16_Ev8ABC_dims24hipblaslt_initializationbPT_mmmmmEUlmE5_EvS4_mmT0_.num_vgpr, 3
	.set _Z11fill_kernelIDF16_Z21hipblaslt_init_deviceIDF16_Ev8ABC_dims24hipblaslt_initializationbPT_mmmmmEUlmE5_EvS4_mmT0_.num_agpr, 0
	.set _Z11fill_kernelIDF16_Z21hipblaslt_init_deviceIDF16_Ev8ABC_dims24hipblaslt_initializationbPT_mmmmmEUlmE5_EvS4_mmT0_.numbered_sgpr, 10
	.set _Z11fill_kernelIDF16_Z21hipblaslt_init_deviceIDF16_Ev8ABC_dims24hipblaslt_initializationbPT_mmmmmEUlmE5_EvS4_mmT0_.num_named_barrier, 0
	.set _Z11fill_kernelIDF16_Z21hipblaslt_init_deviceIDF16_Ev8ABC_dims24hipblaslt_initializationbPT_mmmmmEUlmE5_EvS4_mmT0_.private_seg_size, 0
	.set _Z11fill_kernelIDF16_Z21hipblaslt_init_deviceIDF16_Ev8ABC_dims24hipblaslt_initializationbPT_mmmmmEUlmE5_EvS4_mmT0_.uses_vcc, 0
	.set _Z11fill_kernelIDF16_Z21hipblaslt_init_deviceIDF16_Ev8ABC_dims24hipblaslt_initializationbPT_mmmmmEUlmE5_EvS4_mmT0_.uses_flat_scratch, 0
	.set _Z11fill_kernelIDF16_Z21hipblaslt_init_deviceIDF16_Ev8ABC_dims24hipblaslt_initializationbPT_mmmmmEUlmE5_EvS4_mmT0_.has_dyn_sized_stack, 0
	.set _Z11fill_kernelIDF16_Z21hipblaslt_init_deviceIDF16_Ev8ABC_dims24hipblaslt_initializationbPT_mmmmmEUlmE5_EvS4_mmT0_.has_recursion, 0
	.set _Z11fill_kernelIDF16_Z21hipblaslt_init_deviceIDF16_Ev8ABC_dims24hipblaslt_initializationbPT_mmmmmEUlmE5_EvS4_mmT0_.has_indirect_call, 0
	.section	.AMDGPU.csdata,"",@progbits
; Kernel info:
; codeLenInByte = 156
; TotalNumSgprs: 10
; NumVgprs: 3
; ScratchSize: 0
; MemoryBound: 0
; FloatMode: 240
; IeeeMode: 1
; LDSByteSize: 0 bytes/workgroup (compile time only)
; SGPRBlocks: 0
; VGPRBlocks: 0
; NumSGPRsForWavesPerEU: 10
; NumVGPRsForWavesPerEU: 3
; NamedBarCnt: 0
; Occupancy: 16
; WaveLimiterHint : 0
; COMPUTE_PGM_RSRC2:SCRATCH_EN: 0
; COMPUTE_PGM_RSRC2:USER_SGPR: 2
; COMPUTE_PGM_RSRC2:TRAP_HANDLER: 0
; COMPUTE_PGM_RSRC2:TGID_X_EN: 1
; COMPUTE_PGM_RSRC2:TGID_Y_EN: 0
; COMPUTE_PGM_RSRC2:TGID_Z_EN: 0
; COMPUTE_PGM_RSRC2:TIDIG_COMP_CNT: 0
	.section	.text._Z11fill_kernelIDF16_Z21hipblaslt_init_deviceIDF16_Ev8ABC_dims24hipblaslt_initializationbPT_mmmmmEUlmE6_EvS4_mmT0_,"axG",@progbits,_Z11fill_kernelIDF16_Z21hipblaslt_init_deviceIDF16_Ev8ABC_dims24hipblaslt_initializationbPT_mmmmmEUlmE6_EvS4_mmT0_,comdat
	.protected	_Z11fill_kernelIDF16_Z21hipblaslt_init_deviceIDF16_Ev8ABC_dims24hipblaslt_initializationbPT_mmmmmEUlmE6_EvS4_mmT0_ ; -- Begin function _Z11fill_kernelIDF16_Z21hipblaslt_init_deviceIDF16_Ev8ABC_dims24hipblaslt_initializationbPT_mmmmmEUlmE6_EvS4_mmT0_
	.globl	_Z11fill_kernelIDF16_Z21hipblaslt_init_deviceIDF16_Ev8ABC_dims24hipblaslt_initializationbPT_mmmmmEUlmE6_EvS4_mmT0_
	.p2align	8
	.type	_Z11fill_kernelIDF16_Z21hipblaslt_init_deviceIDF16_Ev8ABC_dims24hipblaslt_initializationbPT_mmmmmEUlmE6_EvS4_mmT0_,@function
_Z11fill_kernelIDF16_Z21hipblaslt_init_deviceIDF16_Ev8ABC_dims24hipblaslt_initializationbPT_mmmmmEUlmE6_EvS4_mmT0_: ; @_Z11fill_kernelIDF16_Z21hipblaslt_init_deviceIDF16_Ev8ABC_dims24hipblaslt_initializationbPT_mmmmmEUlmE6_EvS4_mmT0_
; %bb.0:
	s_clause 0x1
	s_load_b32 s2, s[0:1], 0x2c
	s_load_b128 s[4:7], s[0:1], 0x0
	s_bfe_u32 s3, ttmp6, 0x4000c
	s_and_b32 s8, ttmp6, 15
	s_add_co_i32 s3, s3, 1
	s_getreg_b32 s9, hwreg(HW_REG_IB_STS2, 6, 4)
	s_mul_i32 s3, ttmp9, s3
	v_mov_b32_e32 v1, 0
	s_add_co_i32 s8, s8, s3
	s_wait_kmcnt 0x0
	s_and_b32 s2, s2, 0xffff
	s_cmp_eq_u32 s9, 0
	s_cselect_b32 s3, ttmp9, s8
	s_delay_alu instid0(SALU_CYCLE_1) | instskip(SKIP_1) | instid1(VALU_DEP_1)
	v_mad_u32 v0, s3, s2, v0
	s_mov_b32 s2, exec_lo
	v_cmpx_gt_u64_e64 s[6:7], v[0:1]
	s_cbranch_execz .LBB29_2
; %bb.1:
	s_load_b64 s[0:1], s[0:1], 0x10
	v_mov_b32_e32 v2, 0x3fc
	s_wait_kmcnt 0x0
	s_lshl_b64 s[0:1], s[0:1], 1
	s_delay_alu instid0(SALU_CYCLE_1) | instskip(NEXT) | instid1(SALU_CYCLE_1)
	s_add_nc_u64 s[0:1], s[4:5], s[0:1]
	v_lshl_add_u64 v[0:1], v[0:1], 1, s[0:1]
	global_store_b16 v[0:1], v2, off
.LBB29_2:
	s_endpgm
	.section	.rodata,"a",@progbits
	.p2align	6, 0x0
	.amdhsa_kernel _Z11fill_kernelIDF16_Z21hipblaslt_init_deviceIDF16_Ev8ABC_dims24hipblaslt_initializationbPT_mmmmmEUlmE6_EvS4_mmT0_
		.amdhsa_group_segment_fixed_size 0
		.amdhsa_private_segment_fixed_size 0
		.amdhsa_kernarg_size 288
		.amdhsa_user_sgpr_count 2
		.amdhsa_user_sgpr_dispatch_ptr 0
		.amdhsa_user_sgpr_queue_ptr 0
		.amdhsa_user_sgpr_kernarg_segment_ptr 1
		.amdhsa_user_sgpr_dispatch_id 0
		.amdhsa_user_sgpr_kernarg_preload_length 0
		.amdhsa_user_sgpr_kernarg_preload_offset 0
		.amdhsa_user_sgpr_private_segment_size 0
		.amdhsa_wavefront_size32 1
		.amdhsa_uses_dynamic_stack 0
		.amdhsa_enable_private_segment 0
		.amdhsa_system_sgpr_workgroup_id_x 1
		.amdhsa_system_sgpr_workgroup_id_y 0
		.amdhsa_system_sgpr_workgroup_id_z 0
		.amdhsa_system_sgpr_workgroup_info 0
		.amdhsa_system_vgpr_workitem_id 0
		.amdhsa_next_free_vgpr 3
		.amdhsa_next_free_sgpr 10
		.amdhsa_named_barrier_count 0
		.amdhsa_reserve_vcc 0
		.amdhsa_float_round_mode_32 0
		.amdhsa_float_round_mode_16_64 0
		.amdhsa_float_denorm_mode_32 3
		.amdhsa_float_denorm_mode_16_64 3
		.amdhsa_fp16_overflow 0
		.amdhsa_memory_ordered 1
		.amdhsa_forward_progress 1
		.amdhsa_inst_pref_size 2
		.amdhsa_round_robin_scheduling 0
		.amdhsa_exception_fp_ieee_invalid_op 0
		.amdhsa_exception_fp_denorm_src 0
		.amdhsa_exception_fp_ieee_div_zero 0
		.amdhsa_exception_fp_ieee_overflow 0
		.amdhsa_exception_fp_ieee_underflow 0
		.amdhsa_exception_fp_ieee_inexact 0
		.amdhsa_exception_int_div_zero 0
	.end_amdhsa_kernel
	.section	.text._Z11fill_kernelIDF16_Z21hipblaslt_init_deviceIDF16_Ev8ABC_dims24hipblaslt_initializationbPT_mmmmmEUlmE6_EvS4_mmT0_,"axG",@progbits,_Z11fill_kernelIDF16_Z21hipblaslt_init_deviceIDF16_Ev8ABC_dims24hipblaslt_initializationbPT_mmmmmEUlmE6_EvS4_mmT0_,comdat
.Lfunc_end29:
	.size	_Z11fill_kernelIDF16_Z21hipblaslt_init_deviceIDF16_Ev8ABC_dims24hipblaslt_initializationbPT_mmmmmEUlmE6_EvS4_mmT0_, .Lfunc_end29-_Z11fill_kernelIDF16_Z21hipblaslt_init_deviceIDF16_Ev8ABC_dims24hipblaslt_initializationbPT_mmmmmEUlmE6_EvS4_mmT0_
                                        ; -- End function
	.set _Z11fill_kernelIDF16_Z21hipblaslt_init_deviceIDF16_Ev8ABC_dims24hipblaslt_initializationbPT_mmmmmEUlmE6_EvS4_mmT0_.num_vgpr, 3
	.set _Z11fill_kernelIDF16_Z21hipblaslt_init_deviceIDF16_Ev8ABC_dims24hipblaslt_initializationbPT_mmmmmEUlmE6_EvS4_mmT0_.num_agpr, 0
	.set _Z11fill_kernelIDF16_Z21hipblaslt_init_deviceIDF16_Ev8ABC_dims24hipblaslt_initializationbPT_mmmmmEUlmE6_EvS4_mmT0_.numbered_sgpr, 10
	.set _Z11fill_kernelIDF16_Z21hipblaslt_init_deviceIDF16_Ev8ABC_dims24hipblaslt_initializationbPT_mmmmmEUlmE6_EvS4_mmT0_.num_named_barrier, 0
	.set _Z11fill_kernelIDF16_Z21hipblaslt_init_deviceIDF16_Ev8ABC_dims24hipblaslt_initializationbPT_mmmmmEUlmE6_EvS4_mmT0_.private_seg_size, 0
	.set _Z11fill_kernelIDF16_Z21hipblaslt_init_deviceIDF16_Ev8ABC_dims24hipblaslt_initializationbPT_mmmmmEUlmE6_EvS4_mmT0_.uses_vcc, 0
	.set _Z11fill_kernelIDF16_Z21hipblaslt_init_deviceIDF16_Ev8ABC_dims24hipblaslt_initializationbPT_mmmmmEUlmE6_EvS4_mmT0_.uses_flat_scratch, 0
	.set _Z11fill_kernelIDF16_Z21hipblaslt_init_deviceIDF16_Ev8ABC_dims24hipblaslt_initializationbPT_mmmmmEUlmE6_EvS4_mmT0_.has_dyn_sized_stack, 0
	.set _Z11fill_kernelIDF16_Z21hipblaslt_init_deviceIDF16_Ev8ABC_dims24hipblaslt_initializationbPT_mmmmmEUlmE6_EvS4_mmT0_.has_recursion, 0
	.set _Z11fill_kernelIDF16_Z21hipblaslt_init_deviceIDF16_Ev8ABC_dims24hipblaslt_initializationbPT_mmmmmEUlmE6_EvS4_mmT0_.has_indirect_call, 0
	.section	.AMDGPU.csdata,"",@progbits
; Kernel info:
; codeLenInByte = 156
; TotalNumSgprs: 10
; NumVgprs: 3
; ScratchSize: 0
; MemoryBound: 0
; FloatMode: 240
; IeeeMode: 1
; LDSByteSize: 0 bytes/workgroup (compile time only)
; SGPRBlocks: 0
; VGPRBlocks: 0
; NumSGPRsForWavesPerEU: 10
; NumVGPRsForWavesPerEU: 3
; NamedBarCnt: 0
; Occupancy: 16
; WaveLimiterHint : 0
; COMPUTE_PGM_RSRC2:SCRATCH_EN: 0
; COMPUTE_PGM_RSRC2:USER_SGPR: 2
; COMPUTE_PGM_RSRC2:TRAP_HANDLER: 0
; COMPUTE_PGM_RSRC2:TGID_X_EN: 1
; COMPUTE_PGM_RSRC2:TGID_Y_EN: 0
; COMPUTE_PGM_RSRC2:TGID_Z_EN: 0
; COMPUTE_PGM_RSRC2:TIDIG_COMP_CNT: 0
	.section	.text._Z11fill_kernelIDF16_Z21hipblaslt_init_deviceIDF16_Ev8ABC_dims24hipblaslt_initializationbPT_mmmmmEUlmE7_EvS4_mmT0_,"axG",@progbits,_Z11fill_kernelIDF16_Z21hipblaslt_init_deviceIDF16_Ev8ABC_dims24hipblaslt_initializationbPT_mmmmmEUlmE7_EvS4_mmT0_,comdat
	.protected	_Z11fill_kernelIDF16_Z21hipblaslt_init_deviceIDF16_Ev8ABC_dims24hipblaslt_initializationbPT_mmmmmEUlmE7_EvS4_mmT0_ ; -- Begin function _Z11fill_kernelIDF16_Z21hipblaslt_init_deviceIDF16_Ev8ABC_dims24hipblaslt_initializationbPT_mmmmmEUlmE7_EvS4_mmT0_
	.globl	_Z11fill_kernelIDF16_Z21hipblaslt_init_deviceIDF16_Ev8ABC_dims24hipblaslt_initializationbPT_mmmmmEUlmE7_EvS4_mmT0_
	.p2align	8
	.type	_Z11fill_kernelIDF16_Z21hipblaslt_init_deviceIDF16_Ev8ABC_dims24hipblaslt_initializationbPT_mmmmmEUlmE7_EvS4_mmT0_,@function
_Z11fill_kernelIDF16_Z21hipblaslt_init_deviceIDF16_Ev8ABC_dims24hipblaslt_initializationbPT_mmmmmEUlmE7_EvS4_mmT0_: ; @_Z11fill_kernelIDF16_Z21hipblaslt_init_deviceIDF16_Ev8ABC_dims24hipblaslt_initializationbPT_mmmmmEUlmE7_EvS4_mmT0_
; %bb.0:
	s_clause 0x1
	s_load_b32 s2, s[0:1], 0x2c
	s_load_b128 s[4:7], s[0:1], 0x0
	s_bfe_u32 s3, ttmp6, 0x4000c
	s_and_b32 s8, ttmp6, 15
	s_add_co_i32 s3, s3, 1
	s_getreg_b32 s9, hwreg(HW_REG_IB_STS2, 6, 4)
	s_mul_i32 s3, ttmp9, s3
	v_mov_b32_e32 v1, 0
	s_add_co_i32 s8, s8, s3
	s_wait_kmcnt 0x0
	s_and_b32 s2, s2, 0xffff
	s_cmp_eq_u32 s9, 0
	s_cselect_b32 s3, ttmp9, s8
	s_delay_alu instid0(SALU_CYCLE_1) | instskip(SKIP_1) | instid1(VALU_DEP_1)
	v_mad_u32 v0, s3, s2, v0
	s_mov_b32 s2, exec_lo
	v_cmpx_gt_u64_e64 s[6:7], v[0:1]
	s_cbranch_execz .LBB30_2
; %bb.1:
	s_load_b64 s[0:1], s[0:1], 0x10
	s_wait_kmcnt 0x0
	v_add_nc_u64_e32 v[0:1], s[0:1], v[0:1]
	s_mov_b32 s0, 0x19660d
	s_delay_alu instid0(VALU_DEP_1) | instid1(SALU_CYCLE_1)
	v_mad_nc_u64_u32 v[2:3], v0, s0, 0x3c6ef35f
	s_delay_alu instid0(VALU_DEP_1) | instskip(SKIP_1) | instid1(VALU_DEP_2)
	v_mad_u32 v3, 0x19660d, v1, v3
	v_lshl_add_u64 v[0:1], v[0:1], 1, s[4:5]
	v_lshlrev_b64_e32 v[4:5], 13, v[2:3]
	s_delay_alu instid0(VALU_DEP_1) | instskip(NEXT) | instid1(VALU_DEP_2)
	v_xor_b32_e32 v3, v5, v3
	v_xor_b32_e32 v2, v4, v2
	s_delay_alu instid0(VALU_DEP_1) | instskip(NEXT) | instid1(VALU_DEP_1)
	v_lshrrev_b64 v[4:5], 17, v[2:3]
	v_xor_b32_e32 v3, v5, v3
	s_delay_alu instid0(VALU_DEP_2) | instskip(NEXT) | instid1(VALU_DEP_1)
	v_xor_b32_e32 v2, v4, v2
	v_lshlrev_b64_e32 v[4:5], 5, v[2:3]
	s_delay_alu instid0(VALU_DEP_1) | instskip(NEXT) | instid1(VALU_DEP_2)
	v_xor_b32_e32 v3, v5, v3
	v_xor_b32_e32 v2, v4, v2
	s_delay_alu instid0(VALU_DEP_1) | instskip(NEXT) | instid1(VALU_DEP_1)
	v_lshlrev_b64_e32 v[4:5], 13, v[2:3]
	v_xor_b32_e32 v3, v5, v3
	s_delay_alu instid0(VALU_DEP_2) | instskip(NEXT) | instid1(VALU_DEP_1)
	v_xor_b32_e32 v2, v4, v2
	v_lshrrev_b64 v[4:5], 17, v[2:3]
	s_delay_alu instid0(VALU_DEP_1) | instskip(NEXT) | instid1(VALU_DEP_2)
	v_xor_b32_e32 v3, v5, v3
	v_xor_b32_e32 v2, v4, v2
	s_delay_alu instid0(VALU_DEP_1) | instskip(NEXT) | instid1(VALU_DEP_1)
	v_lshlrev_b64_e32 v[4:5], 5, v[2:3]
	v_xor_b32_e32 v3, v5, v3
	s_delay_alu instid0(VALU_DEP_2) | instskip(NEXT) | instid1(VALU_DEP_1)
	v_xor_b32_e32 v2, v4, v2
	v_lshlrev_b64_e32 v[4:5], 13, v[2:3]
	s_delay_alu instid0(VALU_DEP_1) | instskip(NEXT) | instid1(VALU_DEP_2)
	v_xor_b32_e32 v3, v5, v3
	v_xor_b32_e32 v2, v4, v2
	s_delay_alu instid0(VALU_DEP_1) | instskip(NEXT) | instid1(VALU_DEP_1)
	v_alignbit_b32 v3, v3, v2, 17
	v_xor_b32_e32 v2, v3, v2
	s_delay_alu instid0(VALU_DEP_1) | instskip(NEXT) | instid1(VALU_DEP_1)
	v_lshlrev_b32_e32 v3, 5, v2
	v_xor_b32_e32 v2, v3, v2
	s_delay_alu instid0(VALU_DEP_1) | instskip(NEXT) | instid1(VALU_DEP_1)
	v_mul_hi_u32 v3, 0xcccccccd, v2
	v_lshrrev_b32_e32 v3, 3, v3
	s_delay_alu instid0(VALU_DEP_1) | instskip(NEXT) | instid1(VALU_DEP_1)
	v_mul_lo_u32 v3, v3, 10
	v_sub_nc_u32_e32 v2, v2, v3
	s_delay_alu instid0(VALU_DEP_1) | instskip(NEXT) | instid1(VALU_DEP_1)
	v_add_nc_u32_e32 v2, 1, v2
	v_cvt_f32_u32_e32 v2, v2
	s_delay_alu instid0(VALU_DEP_1)
	v_cvt_f16_f32_e32 v2, v2
	global_store_b16 v[0:1], v2, off
.LBB30_2:
	s_endpgm
	.section	.rodata,"a",@progbits
	.p2align	6, 0x0
	.amdhsa_kernel _Z11fill_kernelIDF16_Z21hipblaslt_init_deviceIDF16_Ev8ABC_dims24hipblaslt_initializationbPT_mmmmmEUlmE7_EvS4_mmT0_
		.amdhsa_group_segment_fixed_size 0
		.amdhsa_private_segment_fixed_size 0
		.amdhsa_kernarg_size 288
		.amdhsa_user_sgpr_count 2
		.amdhsa_user_sgpr_dispatch_ptr 0
		.amdhsa_user_sgpr_queue_ptr 0
		.amdhsa_user_sgpr_kernarg_segment_ptr 1
		.amdhsa_user_sgpr_dispatch_id 0
		.amdhsa_user_sgpr_kernarg_preload_length 0
		.amdhsa_user_sgpr_kernarg_preload_offset 0
		.amdhsa_user_sgpr_private_segment_size 0
		.amdhsa_wavefront_size32 1
		.amdhsa_uses_dynamic_stack 0
		.amdhsa_enable_private_segment 0
		.amdhsa_system_sgpr_workgroup_id_x 1
		.amdhsa_system_sgpr_workgroup_id_y 0
		.amdhsa_system_sgpr_workgroup_id_z 0
		.amdhsa_system_sgpr_workgroup_info 0
		.amdhsa_system_vgpr_workitem_id 0
		.amdhsa_next_free_vgpr 6
		.amdhsa_next_free_sgpr 10
		.amdhsa_named_barrier_count 0
		.amdhsa_reserve_vcc 0
		.amdhsa_float_round_mode_32 0
		.amdhsa_float_round_mode_16_64 0
		.amdhsa_float_denorm_mode_32 3
		.amdhsa_float_denorm_mode_16_64 3
		.amdhsa_fp16_overflow 0
		.amdhsa_memory_ordered 1
		.amdhsa_forward_progress 1
		.amdhsa_inst_pref_size 4
		.amdhsa_round_robin_scheduling 0
		.amdhsa_exception_fp_ieee_invalid_op 0
		.amdhsa_exception_fp_denorm_src 0
		.amdhsa_exception_fp_ieee_div_zero 0
		.amdhsa_exception_fp_ieee_overflow 0
		.amdhsa_exception_fp_ieee_underflow 0
		.amdhsa_exception_fp_ieee_inexact 0
		.amdhsa_exception_int_div_zero 0
	.end_amdhsa_kernel
	.section	.text._Z11fill_kernelIDF16_Z21hipblaslt_init_deviceIDF16_Ev8ABC_dims24hipblaslt_initializationbPT_mmmmmEUlmE7_EvS4_mmT0_,"axG",@progbits,_Z11fill_kernelIDF16_Z21hipblaslt_init_deviceIDF16_Ev8ABC_dims24hipblaslt_initializationbPT_mmmmmEUlmE7_EvS4_mmT0_,comdat
.Lfunc_end30:
	.size	_Z11fill_kernelIDF16_Z21hipblaslt_init_deviceIDF16_Ev8ABC_dims24hipblaslt_initializationbPT_mmmmmEUlmE7_EvS4_mmT0_, .Lfunc_end30-_Z11fill_kernelIDF16_Z21hipblaslt_init_deviceIDF16_Ev8ABC_dims24hipblaslt_initializationbPT_mmmmmEUlmE7_EvS4_mmT0_
                                        ; -- End function
	.set _Z11fill_kernelIDF16_Z21hipblaslt_init_deviceIDF16_Ev8ABC_dims24hipblaslt_initializationbPT_mmmmmEUlmE7_EvS4_mmT0_.num_vgpr, 6
	.set _Z11fill_kernelIDF16_Z21hipblaslt_init_deviceIDF16_Ev8ABC_dims24hipblaslt_initializationbPT_mmmmmEUlmE7_EvS4_mmT0_.num_agpr, 0
	.set _Z11fill_kernelIDF16_Z21hipblaslt_init_deviceIDF16_Ev8ABC_dims24hipblaslt_initializationbPT_mmmmmEUlmE7_EvS4_mmT0_.numbered_sgpr, 10
	.set _Z11fill_kernelIDF16_Z21hipblaslt_init_deviceIDF16_Ev8ABC_dims24hipblaslt_initializationbPT_mmmmmEUlmE7_EvS4_mmT0_.num_named_barrier, 0
	.set _Z11fill_kernelIDF16_Z21hipblaslt_init_deviceIDF16_Ev8ABC_dims24hipblaslt_initializationbPT_mmmmmEUlmE7_EvS4_mmT0_.private_seg_size, 0
	.set _Z11fill_kernelIDF16_Z21hipblaslt_init_deviceIDF16_Ev8ABC_dims24hipblaslt_initializationbPT_mmmmmEUlmE7_EvS4_mmT0_.uses_vcc, 0
	.set _Z11fill_kernelIDF16_Z21hipblaslt_init_deviceIDF16_Ev8ABC_dims24hipblaslt_initializationbPT_mmmmmEUlmE7_EvS4_mmT0_.uses_flat_scratch, 0
	.set _Z11fill_kernelIDF16_Z21hipblaslt_init_deviceIDF16_Ev8ABC_dims24hipblaslt_initializationbPT_mmmmmEUlmE7_EvS4_mmT0_.has_dyn_sized_stack, 0
	.set _Z11fill_kernelIDF16_Z21hipblaslt_init_deviceIDF16_Ev8ABC_dims24hipblaslt_initializationbPT_mmmmmEUlmE7_EvS4_mmT0_.has_recursion, 0
	.set _Z11fill_kernelIDF16_Z21hipblaslt_init_deviceIDF16_Ev8ABC_dims24hipblaslt_initializationbPT_mmmmmEUlmE7_EvS4_mmT0_.has_indirect_call, 0
	.section	.AMDGPU.csdata,"",@progbits
; Kernel info:
; codeLenInByte = 396
; TotalNumSgprs: 10
; NumVgprs: 6
; ScratchSize: 0
; MemoryBound: 0
; FloatMode: 240
; IeeeMode: 1
; LDSByteSize: 0 bytes/workgroup (compile time only)
; SGPRBlocks: 0
; VGPRBlocks: 0
; NumSGPRsForWavesPerEU: 10
; NumVGPRsForWavesPerEU: 6
; NamedBarCnt: 0
; Occupancy: 16
; WaveLimiterHint : 0
; COMPUTE_PGM_RSRC2:SCRATCH_EN: 0
; COMPUTE_PGM_RSRC2:USER_SGPR: 2
; COMPUTE_PGM_RSRC2:TRAP_HANDLER: 0
; COMPUTE_PGM_RSRC2:TGID_X_EN: 1
; COMPUTE_PGM_RSRC2:TGID_Y_EN: 0
; COMPUTE_PGM_RSRC2:TGID_Z_EN: 0
; COMPUTE_PGM_RSRC2:TIDIG_COMP_CNT: 0
	.section	.text._Z11fill_kernelIDF16_Z21hipblaslt_init_deviceIDF16_Ev8ABC_dims24hipblaslt_initializationbPT_mmmmmEUlmE8_EvS4_mmT0_,"axG",@progbits,_Z11fill_kernelIDF16_Z21hipblaslt_init_deviceIDF16_Ev8ABC_dims24hipblaslt_initializationbPT_mmmmmEUlmE8_EvS4_mmT0_,comdat
	.protected	_Z11fill_kernelIDF16_Z21hipblaslt_init_deviceIDF16_Ev8ABC_dims24hipblaslt_initializationbPT_mmmmmEUlmE8_EvS4_mmT0_ ; -- Begin function _Z11fill_kernelIDF16_Z21hipblaslt_init_deviceIDF16_Ev8ABC_dims24hipblaslt_initializationbPT_mmmmmEUlmE8_EvS4_mmT0_
	.globl	_Z11fill_kernelIDF16_Z21hipblaslt_init_deviceIDF16_Ev8ABC_dims24hipblaslt_initializationbPT_mmmmmEUlmE8_EvS4_mmT0_
	.p2align	8
	.type	_Z11fill_kernelIDF16_Z21hipblaslt_init_deviceIDF16_Ev8ABC_dims24hipblaslt_initializationbPT_mmmmmEUlmE8_EvS4_mmT0_,@function
_Z11fill_kernelIDF16_Z21hipblaslt_init_deviceIDF16_Ev8ABC_dims24hipblaslt_initializationbPT_mmmmmEUlmE8_EvS4_mmT0_: ; @_Z11fill_kernelIDF16_Z21hipblaslt_init_deviceIDF16_Ev8ABC_dims24hipblaslt_initializationbPT_mmmmmEUlmE8_EvS4_mmT0_
; %bb.0:
	s_clause 0x1
	s_load_b32 s2, s[0:1], 0x2c
	s_load_b128 s[4:7], s[0:1], 0x0
	s_bfe_u32 s3, ttmp6, 0x4000c
	s_and_b32 s8, ttmp6, 15
	s_add_co_i32 s3, s3, 1
	s_getreg_b32 s9, hwreg(HW_REG_IB_STS2, 6, 4)
	s_mul_i32 s3, ttmp9, s3
	v_mov_b32_e32 v1, 0
	s_add_co_i32 s8, s8, s3
	s_wait_kmcnt 0x0
	s_and_b32 s2, s2, 0xffff
	s_cmp_eq_u32 s9, 0
	s_cselect_b32 s3, ttmp9, s8
	s_delay_alu instid0(SALU_CYCLE_1) | instskip(SKIP_1) | instid1(VALU_DEP_1)
	v_mad_u32 v0, s3, s2, v0
	s_mov_b32 s2, exec_lo
	v_cmpx_gt_u64_e64 s[6:7], v[0:1]
	s_cbranch_execz .LBB31_2
; %bb.1:
	s_load_b64 s[0:1], s[0:1], 0x10
	s_wait_kmcnt 0x0
	s_lshl_b64 s[0:1], s[0:1], 1
	s_delay_alu instid0(SALU_CYCLE_1) | instskip(NEXT) | instid1(SALU_CYCLE_1)
	s_add_nc_u64 s[0:1], s[4:5], s[0:1]
	v_lshl_add_u64 v[2:3], v[0:1], 1, s[0:1]
	global_store_b16 v[2:3], v1, off
.LBB31_2:
	s_endpgm
	.section	.rodata,"a",@progbits
	.p2align	6, 0x0
	.amdhsa_kernel _Z11fill_kernelIDF16_Z21hipblaslt_init_deviceIDF16_Ev8ABC_dims24hipblaslt_initializationbPT_mmmmmEUlmE8_EvS4_mmT0_
		.amdhsa_group_segment_fixed_size 0
		.amdhsa_private_segment_fixed_size 0
		.amdhsa_kernarg_size 288
		.amdhsa_user_sgpr_count 2
		.amdhsa_user_sgpr_dispatch_ptr 0
		.amdhsa_user_sgpr_queue_ptr 0
		.amdhsa_user_sgpr_kernarg_segment_ptr 1
		.amdhsa_user_sgpr_dispatch_id 0
		.amdhsa_user_sgpr_kernarg_preload_length 0
		.amdhsa_user_sgpr_kernarg_preload_offset 0
		.amdhsa_user_sgpr_private_segment_size 0
		.amdhsa_wavefront_size32 1
		.amdhsa_uses_dynamic_stack 0
		.amdhsa_enable_private_segment 0
		.amdhsa_system_sgpr_workgroup_id_x 1
		.amdhsa_system_sgpr_workgroup_id_y 0
		.amdhsa_system_sgpr_workgroup_id_z 0
		.amdhsa_system_sgpr_workgroup_info 0
		.amdhsa_system_vgpr_workitem_id 0
		.amdhsa_next_free_vgpr 4
		.amdhsa_next_free_sgpr 10
		.amdhsa_named_barrier_count 0
		.amdhsa_reserve_vcc 0
		.amdhsa_float_round_mode_32 0
		.amdhsa_float_round_mode_16_64 0
		.amdhsa_float_denorm_mode_32 3
		.amdhsa_float_denorm_mode_16_64 3
		.amdhsa_fp16_overflow 0
		.amdhsa_memory_ordered 1
		.amdhsa_forward_progress 1
		.amdhsa_inst_pref_size 2
		.amdhsa_round_robin_scheduling 0
		.amdhsa_exception_fp_ieee_invalid_op 0
		.amdhsa_exception_fp_denorm_src 0
		.amdhsa_exception_fp_ieee_div_zero 0
		.amdhsa_exception_fp_ieee_overflow 0
		.amdhsa_exception_fp_ieee_underflow 0
		.amdhsa_exception_fp_ieee_inexact 0
		.amdhsa_exception_int_div_zero 0
	.end_amdhsa_kernel
	.section	.text._Z11fill_kernelIDF16_Z21hipblaslt_init_deviceIDF16_Ev8ABC_dims24hipblaslt_initializationbPT_mmmmmEUlmE8_EvS4_mmT0_,"axG",@progbits,_Z11fill_kernelIDF16_Z21hipblaslt_init_deviceIDF16_Ev8ABC_dims24hipblaslt_initializationbPT_mmmmmEUlmE8_EvS4_mmT0_,comdat
.Lfunc_end31:
	.size	_Z11fill_kernelIDF16_Z21hipblaslt_init_deviceIDF16_Ev8ABC_dims24hipblaslt_initializationbPT_mmmmmEUlmE8_EvS4_mmT0_, .Lfunc_end31-_Z11fill_kernelIDF16_Z21hipblaslt_init_deviceIDF16_Ev8ABC_dims24hipblaslt_initializationbPT_mmmmmEUlmE8_EvS4_mmT0_
                                        ; -- End function
	.set _Z11fill_kernelIDF16_Z21hipblaslt_init_deviceIDF16_Ev8ABC_dims24hipblaslt_initializationbPT_mmmmmEUlmE8_EvS4_mmT0_.num_vgpr, 4
	.set _Z11fill_kernelIDF16_Z21hipblaslt_init_deviceIDF16_Ev8ABC_dims24hipblaslt_initializationbPT_mmmmmEUlmE8_EvS4_mmT0_.num_agpr, 0
	.set _Z11fill_kernelIDF16_Z21hipblaslt_init_deviceIDF16_Ev8ABC_dims24hipblaslt_initializationbPT_mmmmmEUlmE8_EvS4_mmT0_.numbered_sgpr, 10
	.set _Z11fill_kernelIDF16_Z21hipblaslt_init_deviceIDF16_Ev8ABC_dims24hipblaslt_initializationbPT_mmmmmEUlmE8_EvS4_mmT0_.num_named_barrier, 0
	.set _Z11fill_kernelIDF16_Z21hipblaslt_init_deviceIDF16_Ev8ABC_dims24hipblaslt_initializationbPT_mmmmmEUlmE8_EvS4_mmT0_.private_seg_size, 0
	.set _Z11fill_kernelIDF16_Z21hipblaslt_init_deviceIDF16_Ev8ABC_dims24hipblaslt_initializationbPT_mmmmmEUlmE8_EvS4_mmT0_.uses_vcc, 0
	.set _Z11fill_kernelIDF16_Z21hipblaslt_init_deviceIDF16_Ev8ABC_dims24hipblaslt_initializationbPT_mmmmmEUlmE8_EvS4_mmT0_.uses_flat_scratch, 0
	.set _Z11fill_kernelIDF16_Z21hipblaslt_init_deviceIDF16_Ev8ABC_dims24hipblaslt_initializationbPT_mmmmmEUlmE8_EvS4_mmT0_.has_dyn_sized_stack, 0
	.set _Z11fill_kernelIDF16_Z21hipblaslt_init_deviceIDF16_Ev8ABC_dims24hipblaslt_initializationbPT_mmmmmEUlmE8_EvS4_mmT0_.has_recursion, 0
	.set _Z11fill_kernelIDF16_Z21hipblaslt_init_deviceIDF16_Ev8ABC_dims24hipblaslt_initializationbPT_mmmmmEUlmE8_EvS4_mmT0_.has_indirect_call, 0
	.section	.AMDGPU.csdata,"",@progbits
; Kernel info:
; codeLenInByte = 148
; TotalNumSgprs: 10
; NumVgprs: 4
; ScratchSize: 0
; MemoryBound: 0
; FloatMode: 240
; IeeeMode: 1
; LDSByteSize: 0 bytes/workgroup (compile time only)
; SGPRBlocks: 0
; VGPRBlocks: 0
; NumSGPRsForWavesPerEU: 10
; NumVGPRsForWavesPerEU: 4
; NamedBarCnt: 0
; Occupancy: 16
; WaveLimiterHint : 0
; COMPUTE_PGM_RSRC2:SCRATCH_EN: 0
; COMPUTE_PGM_RSRC2:USER_SGPR: 2
; COMPUTE_PGM_RSRC2:TRAP_HANDLER: 0
; COMPUTE_PGM_RSRC2:TGID_X_EN: 1
; COMPUTE_PGM_RSRC2:TGID_Y_EN: 0
; COMPUTE_PGM_RSRC2:TGID_Z_EN: 0
; COMPUTE_PGM_RSRC2:TIDIG_COMP_CNT: 0
	.section	.text._Z11fill_kernelIDF16_Z21hipblaslt_init_deviceIDF16_Ev8ABC_dims24hipblaslt_initializationbPT_mmmmmEUlmE9_EvS4_mmT0_,"axG",@progbits,_Z11fill_kernelIDF16_Z21hipblaslt_init_deviceIDF16_Ev8ABC_dims24hipblaslt_initializationbPT_mmmmmEUlmE9_EvS4_mmT0_,comdat
	.protected	_Z11fill_kernelIDF16_Z21hipblaslt_init_deviceIDF16_Ev8ABC_dims24hipblaslt_initializationbPT_mmmmmEUlmE9_EvS4_mmT0_ ; -- Begin function _Z11fill_kernelIDF16_Z21hipblaslt_init_deviceIDF16_Ev8ABC_dims24hipblaslt_initializationbPT_mmmmmEUlmE9_EvS4_mmT0_
	.globl	_Z11fill_kernelIDF16_Z21hipblaslt_init_deviceIDF16_Ev8ABC_dims24hipblaslt_initializationbPT_mmmmmEUlmE9_EvS4_mmT0_
	.p2align	8
	.type	_Z11fill_kernelIDF16_Z21hipblaslt_init_deviceIDF16_Ev8ABC_dims24hipblaslt_initializationbPT_mmmmmEUlmE9_EvS4_mmT0_,@function
_Z11fill_kernelIDF16_Z21hipblaslt_init_deviceIDF16_Ev8ABC_dims24hipblaslt_initializationbPT_mmmmmEUlmE9_EvS4_mmT0_: ; @_Z11fill_kernelIDF16_Z21hipblaslt_init_deviceIDF16_Ev8ABC_dims24hipblaslt_initializationbPT_mmmmmEUlmE9_EvS4_mmT0_
; %bb.0:
	s_clause 0x1
	s_load_b32 s2, s[0:1], 0x2c
	s_load_b128 s[4:7], s[0:1], 0x0
	s_bfe_u32 s3, ttmp6, 0x4000c
	s_and_b32 s8, ttmp6, 15
	s_add_co_i32 s3, s3, 1
	s_getreg_b32 s9, hwreg(HW_REG_IB_STS2, 6, 4)
	s_mul_i32 s3, ttmp9, s3
	v_mov_b32_e32 v1, 0
	s_add_co_i32 s8, s8, s3
	s_wait_kmcnt 0x0
	s_and_b32 s2, s2, 0xffff
	s_cmp_eq_u32 s9, 0
	s_cselect_b32 s3, ttmp9, s8
	s_delay_alu instid0(SALU_CYCLE_1) | instskip(SKIP_1) | instid1(VALU_DEP_1)
	v_mad_u32 v0, s3, s2, v0
	s_mov_b32 s2, exec_lo
	v_cmpx_gt_u64_e64 s[6:7], v[0:1]
	s_cbranch_execz .LBB32_6
; %bb.1:
	s_load_b96 s[0:2], s[0:1], 0x10
	s_wait_kmcnt 0x0
	v_add_nc_u64_e32 v[0:1], s[0:1], v[0:1]
	s_mov_b32 s0, 0xb90ffb1d
	s_delay_alu instid0(VALU_DEP_1) | instskip(NEXT) | instid1(VALU_DEP_1)
	v_add_nc_u32_e32 v2, s2, v0
	v_mad_u32 v3, v2, s0, 0xdc6d3ef
	s_mov_b32 s0, 0x6ab9d291
	s_delay_alu instid0(VALU_DEP_1) | instskip(SKIP_3) | instid1(VALU_DEP_2)
	v_lshrrev_b32_e32 v5, 2, v3
	v_mad_u32 v4, 0x10dcd, v2, 1
	v_mad_u32 v6, v2, s0, 0xdfb3c992
	s_mov_b32 s0, exec_lo
	v_dual_lshlrev_b32 v7, 4, v4 :: v_dual_bitop2_b32 v3, v5, v3 bitop3:0x14
	s_delay_alu instid0(VALU_DEP_1) | instskip(NEXT) | instid1(VALU_DEP_1)
	v_dual_lshlrev_b32 v5, 1, v3 :: v_dual_lshrrev_b32 v8, 2, v6
	v_xor_b32_e32 v6, v8, v6
	s_delay_alu instid0(VALU_DEP_2) | instskip(NEXT) | instid1(VALU_DEP_1)
	v_xor_b32_e32 v5, v7, v5
	v_xor3_b32 v3, v5, v4, v3
	s_delay_alu instid0(VALU_DEP_1) | instskip(NEXT) | instid1(VALU_DEP_1)
	v_dual_lshlrev_b32 v5, 4, v3 :: v_dual_lshlrev_b32 v4, 1, v6
	v_xor_b32_e32 v5, v4, v5
	v_xor_b32_e32 v4, 0x587c5, v2
	s_delay_alu instid0(VALU_DEP_2) | instskip(NEXT) | instid1(VALU_DEP_1)
	v_xor3_b32 v2, v5, v6, v3
                                        ; implicit-def: $vgpr6
                                        ; implicit-def: $vgpr5
	v_add3_u32 v2, v4, v2, 0xb0f8a
	s_delay_alu instid0(VALU_DEP_1) | instskip(NEXT) | instid1(VALU_DEP_1)
	v_cvt_f32_u32_e32 v2, v2
	v_mul_f32_e32 v2, 0x2f800000, v2
	s_delay_alu instid0(VALU_DEP_1) | instskip(NEXT) | instid1(VALU_DEP_1)
	v_mul_f32_e32 v2, 0x40c90fdb, v2
	v_cmpx_ngt_f32_e32 0x48000000, v2
	s_xor_b32 s2, exec_lo, s0
	s_cbranch_execz .LBB32_3
; %bb.2:
	s_mov_b32 s0, 0x7fffff
	v_mov_b32_e32 v7, 0
	v_and_or_b32 v6, v2, s0, 0x800000
	s_mov_b64 s[0:1], 0xfe5163ab
	v_lshrrev_b32_e32 v5, 23, v2
	s_delay_alu instid0(VALU_DEP_2) | instskip(NEXT) | instid1(VALU_DEP_1)
	v_mul_u64_e32 v[8:9], s[0:1], v[6:7]
	v_dual_mov_b32 v10, v9 :: v_dual_mov_b32 v11, v7
	v_dual_mov_b32 v13, v7 :: v_dual_mov_b32 v15, v7
	;; [unrolled: 1-line block ×3, first 2 shown]
	s_delay_alu instid0(VALU_DEP_3) | instskip(NEXT) | instid1(VALU_DEP_1)
	v_mad_nc_u64_u32 v[10:11], 0x3c439041, v6, v[10:11]
	v_mov_b32_e32 v12, v11
	s_delay_alu instid0(VALU_DEP_1) | instskip(NEXT) | instid1(VALU_DEP_1)
	v_mad_nc_u64_u32 v[12:13], 0xdb629599, v6, v[12:13]
	v_mov_b32_e32 v14, v13
	s_delay_alu instid0(VALU_DEP_1) | instskip(NEXT) | instid1(VALU_DEP_1)
	;; [unrolled: 3-line block ×3, first 2 shown]
	v_mad_nc_u64_u32 v[16:17], 0xfc2757d1, v6, v[16:17]
	v_dual_mov_b32 v19, v7 :: v_dual_mov_b32 v18, v17
	s_delay_alu instid0(VALU_DEP_1) | instskip(NEXT) | instid1(VALU_DEP_1)
	v_mad_nc_u64_u32 v[18:19], 0x4e441529, v6, v[18:19]
	v_dual_mov_b32 v20, v19 :: v_dual_add_nc_u32 v5, 0xffffff88, v5
	s_delay_alu instid0(VALU_DEP_1) | instskip(NEXT) | instid1(VALU_DEP_2)
	v_cmp_lt_u32_e32 vcc_lo, 63, v5
	v_mad_nc_u64_u32 v[6:7], 0xa2f9836e, v6, v[20:21]
	v_cndmask_b32_e64 v9, 0, 0xffffffc0, vcc_lo
	v_dual_cndmask_b32 v11, v18, v14 :: v_dual_cndmask_b32 v8, v12, v8
	s_delay_alu instid0(VALU_DEP_2) | instskip(NEXT) | instid1(VALU_DEP_1)
	v_add_nc_u32_e32 v5, v9, v5
	v_cmp_lt_u32_e64 s0, 31, v5
	v_dual_cndmask_b32 v6, v6, v16 :: v_dual_cndmask_b32 v7, v7, v18
	s_delay_alu instid0(VALU_DEP_2) | instskip(NEXT) | instid1(VALU_DEP_1)
	v_cndmask_b32_e64 v9, 0, 0xffffffe0, s0
	v_add_nc_u32_e32 v5, v9, v5
	s_delay_alu instid0(VALU_DEP_1) | instskip(NEXT) | instid1(VALU_DEP_1)
	v_cmp_lt_u32_e64 s1, 31, v5
	v_cndmask_b32_e64 v9, 0, 0xffffffe0, s1
	s_delay_alu instid0(VALU_DEP_1) | instskip(SKIP_2) | instid1(VALU_DEP_3)
	v_dual_cndmask_b32 v13, v16, v12, vcc_lo :: v_dual_add_nc_u32 v5, v9, v5
	v_cndmask_b32_e32 v9, v14, v10, vcc_lo
	v_dual_cndmask_b32 v10, v6, v11, s0 :: v_dual_cndmask_b32 v6, v7, v6, s0
	v_cndmask_b32_e64 v7, v11, v13, s0
	s_delay_alu instid0(VALU_DEP_4) | instskip(NEXT) | instid1(VALU_DEP_4)
	v_sub_nc_u32_e32 v11, 32, v5
	v_cndmask_b32_e64 v13, v13, v9, s0
	v_cmp_eq_u32_e32 vcc_lo, 0, v5
	v_cndmask_b32_e64 v6, v6, v10, s1
	s_delay_alu instid0(VALU_DEP_3) | instskip(NEXT) | instid1(VALU_DEP_1)
	v_dual_cndmask_b32 v10, v10, v7, s1 :: v_dual_cndmask_b32 v7, v7, v13, s1
	v_alignbit_b32 v14, v6, v10, v11
	s_delay_alu instid0(VALU_DEP_2) | instskip(NEXT) | instid1(VALU_DEP_2)
	v_alignbit_b32 v12, v10, v7, v11
	v_dual_cndmask_b32 v5, v14, v6, vcc_lo :: v_dual_cndmask_b32 v6, v9, v8, s0
	s_delay_alu instid0(VALU_DEP_1) | instskip(NEXT) | instid1(VALU_DEP_1)
	v_bfe_u32 v9, v5, 29, 1
	v_dual_cndmask_b32 v8, v12, v10, vcc_lo :: v_dual_sub_nc_u32 v12, 0, v9
	s_delay_alu instid0(VALU_DEP_1) | instskip(NEXT) | instid1(VALU_DEP_1)
	v_alignbit_b32 v10, v5, v8, 30
	v_dual_cndmask_b32 v6, v13, v6, s1 :: v_dual_bitop2_b32 v10, v10, v12 bitop3:0x14
	s_delay_alu instid0(VALU_DEP_1) | instskip(NEXT) | instid1(VALU_DEP_1)
	v_alignbit_b32 v11, v7, v6, v11
	v_cndmask_b32_e32 v7, v11, v7, vcc_lo
	s_delay_alu instid0(VALU_DEP_3) | instskip(NEXT) | instid1(VALU_DEP_2)
	v_clz_i32_u32_e32 v11, v10
	v_alignbit_b32 v6, v7, v6, 30
	s_delay_alu instid0(VALU_DEP_2) | instskip(NEXT) | instid1(VALU_DEP_2)
	v_min_u32_e32 v11, 32, v11
	v_xor_b32_e32 v6, v6, v12
	v_alignbit_b32 v8, v8, v7, 30
	s_delay_alu instid0(VALU_DEP_1) | instskip(SKIP_1) | instid1(VALU_DEP_1)
	v_dual_lshlrev_b32 v13, 23, v11 :: v_dual_bitop2_b32 v7, v8, v12 bitop3:0x14
	v_dual_sub_nc_u32 v8, 31, v11 :: v_dual_lshrrev_b32 v12, 29, v5
	v_alignbit_b32 v10, v10, v7, v8
	v_alignbit_b32 v6, v7, v6, v8
	s_delay_alu instid0(VALU_DEP_3) | instskip(NEXT) | instid1(VALU_DEP_2)
	v_lshlrev_b32_e32 v7, 31, v12
	v_alignbit_b32 v8, v10, v6, 9
	s_delay_alu instid0(VALU_DEP_2) | instskip(NEXT) | instid1(VALU_DEP_2)
	v_dual_lshrrev_b32 v10, 9, v10 :: v_dual_bitop2_b32 v12, 0.5, v7 bitop3:0x54
	v_clz_i32_u32_e32 v14, v8
	s_delay_alu instid0(VALU_DEP_2) | instskip(SKIP_1) | instid1(VALU_DEP_3)
	v_sub_nc_u32_e32 v12, v12, v13
	v_or_b32_e32 v7, 0x33000000, v7
	v_min_u32_e32 v13, 32, v14
	s_delay_alu instid0(VALU_DEP_1) | instskip(NEXT) | instid1(VALU_DEP_4)
	v_add_lshl_u32 v11, v13, v11, 23
	v_or_b32_e32 v10, v10, v12
	v_not_b32_e32 v12, v13
	s_delay_alu instid0(VALU_DEP_2) | instskip(NEXT) | instid1(VALU_DEP_2)
	v_dual_mul_f32 v14, 0x3fc90fda, v10 :: v_dual_sub_nc_u32 v7, v7, v11
	v_alignbit_b32 v6, v8, v6, v12
	s_delay_alu instid0(VALU_DEP_2) | instskip(NEXT) | instid1(VALU_DEP_2)
	v_fma_f32 v8, 0x3fc90fda, v10, -v14
	v_lshrrev_b32_e32 v6, 9, v6
	s_delay_alu instid0(VALU_DEP_2) | instskip(NEXT) | instid1(VALU_DEP_2)
	v_fmamk_f32 v8, v10, 0x33a22168, v8
	v_or_b32_e32 v6, v7, v6
	s_delay_alu instid0(VALU_DEP_1) | instskip(NEXT) | instid1(VALU_DEP_1)
	v_fmac_f32_e32 v8, 0x3fc90fda, v6
	v_dual_add_f32 v5, v14, v8 :: v_dual_lshrrev_b32 v6, 30, v5
	s_delay_alu instid0(VALU_DEP_1)
	v_add_nc_u32_e32 v6, v9, v6
.LBB32_3:
	s_and_not1_saveexec_b32 s0, s2
; %bb.4:
	v_mul_f32_e32 v5, 0x3f22f983, v2
	s_delay_alu instid0(VALU_DEP_1) | instskip(NEXT) | instid1(VALU_DEP_1)
	v_rndne_f32_e32 v6, v5
	v_fmamk_f32 v5, v6, 0xbfc90fda, v2
	s_delay_alu instid0(VALU_DEP_1) | instskip(NEXT) | instid1(VALU_DEP_1)
	v_fmamk_f32 v5, v6, 0xb3a22168, v5
	v_fmamk_f32 v5, v6, 0xa7c234c4, v5
	v_cvt_i32_f32_e32 v6, v6
; %bb.5:
	s_or_b32 exec_lo, exec_lo, s0
	v_add3_u32 v3, v4, v3, 0x587c5
	s_mov_b32 s0, 0xb94c1982
	s_mov_b32 s1, 0x37d75334
	v_lshl_add_u64 v[0:1], v[0:1], 1, s[4:5]
	s_delay_alu instid0(VALU_DEP_2) | instskip(NEXT) | instid1(VALU_DEP_1)
	v_cvt_f32_u32_e32 v3, v3
	v_mul_f32_e32 v3, 0x2f800000, v3
	s_delay_alu instid0(VALU_DEP_1) | instskip(SKIP_1) | instid1(VALU_DEP_1)
	v_cmp_ngt_f32_e32 vcc_lo, 0x2edbe6ff, v3
	v_cndmask_b32_e32 v3, 0x2edbe6ff, v3, vcc_lo
	v_cmp_gt_f32_e32 vcc_lo, 0x800000, v3
	v_cndmask_b32_e64 v4, 0, 32, vcc_lo
	v_cndmask_b32_e64 v7, 0, 0x41b17218, vcc_lo
	s_delay_alu instid0(VALU_DEP_2) | instskip(NEXT) | instid1(VALU_DEP_1)
	v_ldexp_f32 v3, v3, v4
	v_log_f32_e32 v3, v3
	v_nop
	s_delay_alu instid0(TRANS32_DEP_1) | instskip(SKIP_1) | instid1(VALU_DEP_2)
	v_mul_f32_e32 v4, 0x3f317217, v3
	v_cmp_gt_f32_e64 vcc_lo, 0x7f800000, |v3|
	v_fma_f32 v4, 0x3f317217, v3, -v4
	s_delay_alu instid0(VALU_DEP_1) | instskip(NEXT) | instid1(VALU_DEP_1)
	v_fmamk_f32 v4, v3, 0x3377d1cf, v4
	v_fmac_f32_e32 v4, 0x3f317217, v3
	s_delay_alu instid0(VALU_DEP_1) | instskip(NEXT) | instid1(VALU_DEP_1)
	v_cndmask_b32_e32 v3, v3, v4, vcc_lo
	v_sub_f32_e32 v3, v3, v7
	s_delay_alu instid0(VALU_DEP_1) | instskip(NEXT) | instid1(VALU_DEP_1)
	v_mul_f32_e32 v3, -2.0, v3
	v_cmp_gt_f32_e32 vcc_lo, 0xf800000, v3
	v_mul_f32_e32 v4, 0x4f800000, v3
	s_delay_alu instid0(VALU_DEP_1) | instskip(NEXT) | instid1(VALU_DEP_1)
	v_dual_cndmask_b32 v3, v3, v4 :: v_dual_mul_f32 v4, v5, v5
	v_sqrt_f32_e32 v7, v3
	s_delay_alu instid0(VALU_DEP_1) | instskip(NEXT) | instid1(TRANS32_DEP_1)
	v_fmaak_f32 v8, s0, v4, 0x3c0881c4
	v_dual_fmaak_f32 v9, s1, v4, 0xbab64f3b :: v_dual_add_nc_u32 v10, -1, v7
	s_delay_alu instid0(VALU_DEP_2) | instskip(NEXT) | instid1(VALU_DEP_1)
	v_dual_fmaak_f32 v8, v4, v8, 0xbe2aaa9d :: v_dual_add_nc_u32 v11, 1, v7
	v_dual_fma_f32 v12, -v10, v7, v3 :: v_dual_fma_f32 v13, -v11, v7, v3
	s_delay_alu instid0(VALU_DEP_2) | instskip(NEXT) | instid1(VALU_DEP_2)
	v_mul_f32_e32 v8, v4, v8
	v_cmp_ge_f32_e64 s0, 0, v12
	s_delay_alu instid0(VALU_DEP_1) | instskip(NEXT) | instid1(VALU_DEP_4)
	v_dual_fmac_f32 v5, v5, v8 :: v_dual_cndmask_b32 v7, v7, v10, s0
	v_cmp_lt_f32_e64 s0, 0, v13
	v_dual_lshlrev_b32 v6, 30, v6 :: v_dual_bitop2_b32 v10, 1, v6 bitop3:0x40
	v_fmaak_f32 v9, v4, v9, 0x3d2aabf7
	s_delay_alu instid0(VALU_DEP_3) | instskip(NEXT) | instid1(VALU_DEP_3)
	v_cndmask_b32_e64 v7, v7, v11, s0
	v_cmp_eq_u32_e64 s0, 0, v10
	s_delay_alu instid0(VALU_DEP_3) | instskip(NEXT) | instid1(VALU_DEP_1)
	v_fmaak_f32 v9, v4, v9, 0xbf000004
	v_fma_f32 v4, v4, v9, 1.0
	s_delay_alu instid0(VALU_DEP_1) | instskip(SKIP_1) | instid1(VALU_DEP_2)
	v_cndmask_b32_e64 v4, -v5, v4, s0
	v_mul_f32_e32 v5, 0x37800000, v7
	v_bitop3_b32 v4, v6, v4, 0x80000000 bitop3:0x6c
	s_delay_alu instid0(VALU_DEP_2) | instskip(SKIP_1) | instid1(VALU_DEP_3)
	v_cndmask_b32_e32 v5, v7, v5, vcc_lo
	v_cmp_lg_f32_e32 vcc_lo, 0x7f800000, v2
	v_cndmask_b32_e32 v2, 0x7fc00000, v4, vcc_lo
	v_cmp_class_f32_e64 vcc_lo, v3, 0x260
	s_delay_alu instid0(VALU_DEP_4) | instskip(NEXT) | instid1(VALU_DEP_1)
	v_cndmask_b32_e32 v3, v5, v3, vcc_lo
	v_fma_mixlo_f16 v2, v3, v2, 0
	global_store_b16 v[0:1], v2, off
.LBB32_6:
	s_endpgm
	.section	.rodata,"a",@progbits
	.p2align	6, 0x0
	.amdhsa_kernel _Z11fill_kernelIDF16_Z21hipblaslt_init_deviceIDF16_Ev8ABC_dims24hipblaslt_initializationbPT_mmmmmEUlmE9_EvS4_mmT0_
		.amdhsa_group_segment_fixed_size 0
		.amdhsa_private_segment_fixed_size 0
		.amdhsa_kernarg_size 288
		.amdhsa_user_sgpr_count 2
		.amdhsa_user_sgpr_dispatch_ptr 0
		.amdhsa_user_sgpr_queue_ptr 0
		.amdhsa_user_sgpr_kernarg_segment_ptr 1
		.amdhsa_user_sgpr_dispatch_id 0
		.amdhsa_user_sgpr_kernarg_preload_length 0
		.amdhsa_user_sgpr_kernarg_preload_offset 0
		.amdhsa_user_sgpr_private_segment_size 0
		.amdhsa_wavefront_size32 1
		.amdhsa_uses_dynamic_stack 0
		.amdhsa_enable_private_segment 0
		.amdhsa_system_sgpr_workgroup_id_x 1
		.amdhsa_system_sgpr_workgroup_id_y 0
		.amdhsa_system_sgpr_workgroup_id_z 0
		.amdhsa_system_sgpr_workgroup_info 0
		.amdhsa_system_vgpr_workitem_id 0
		.amdhsa_next_free_vgpr 22
		.amdhsa_next_free_sgpr 10
		.amdhsa_named_barrier_count 0
		.amdhsa_reserve_vcc 1
		.amdhsa_float_round_mode_32 0
		.amdhsa_float_round_mode_16_64 0
		.amdhsa_float_denorm_mode_32 3
		.amdhsa_float_denorm_mode_16_64 3
		.amdhsa_fp16_overflow 0
		.amdhsa_memory_ordered 1
		.amdhsa_forward_progress 1
		.amdhsa_inst_pref_size 13
		.amdhsa_round_robin_scheduling 0
		.amdhsa_exception_fp_ieee_invalid_op 0
		.amdhsa_exception_fp_denorm_src 0
		.amdhsa_exception_fp_ieee_div_zero 0
		.amdhsa_exception_fp_ieee_overflow 0
		.amdhsa_exception_fp_ieee_underflow 0
		.amdhsa_exception_fp_ieee_inexact 0
		.amdhsa_exception_int_div_zero 0
	.end_amdhsa_kernel
	.section	.text._Z11fill_kernelIDF16_Z21hipblaslt_init_deviceIDF16_Ev8ABC_dims24hipblaslt_initializationbPT_mmmmmEUlmE9_EvS4_mmT0_,"axG",@progbits,_Z11fill_kernelIDF16_Z21hipblaslt_init_deviceIDF16_Ev8ABC_dims24hipblaslt_initializationbPT_mmmmmEUlmE9_EvS4_mmT0_,comdat
.Lfunc_end32:
	.size	_Z11fill_kernelIDF16_Z21hipblaslt_init_deviceIDF16_Ev8ABC_dims24hipblaslt_initializationbPT_mmmmmEUlmE9_EvS4_mmT0_, .Lfunc_end32-_Z11fill_kernelIDF16_Z21hipblaslt_init_deviceIDF16_Ev8ABC_dims24hipblaslt_initializationbPT_mmmmmEUlmE9_EvS4_mmT0_
                                        ; -- End function
	.set _Z11fill_kernelIDF16_Z21hipblaslt_init_deviceIDF16_Ev8ABC_dims24hipblaslt_initializationbPT_mmmmmEUlmE9_EvS4_mmT0_.num_vgpr, 22
	.set _Z11fill_kernelIDF16_Z21hipblaslt_init_deviceIDF16_Ev8ABC_dims24hipblaslt_initializationbPT_mmmmmEUlmE9_EvS4_mmT0_.num_agpr, 0
	.set _Z11fill_kernelIDF16_Z21hipblaslt_init_deviceIDF16_Ev8ABC_dims24hipblaslt_initializationbPT_mmmmmEUlmE9_EvS4_mmT0_.numbered_sgpr, 10
	.set _Z11fill_kernelIDF16_Z21hipblaslt_init_deviceIDF16_Ev8ABC_dims24hipblaslt_initializationbPT_mmmmmEUlmE9_EvS4_mmT0_.num_named_barrier, 0
	.set _Z11fill_kernelIDF16_Z21hipblaslt_init_deviceIDF16_Ev8ABC_dims24hipblaslt_initializationbPT_mmmmmEUlmE9_EvS4_mmT0_.private_seg_size, 0
	.set _Z11fill_kernelIDF16_Z21hipblaslt_init_deviceIDF16_Ev8ABC_dims24hipblaslt_initializationbPT_mmmmmEUlmE9_EvS4_mmT0_.uses_vcc, 1
	.set _Z11fill_kernelIDF16_Z21hipblaslt_init_deviceIDF16_Ev8ABC_dims24hipblaslt_initializationbPT_mmmmmEUlmE9_EvS4_mmT0_.uses_flat_scratch, 0
	.set _Z11fill_kernelIDF16_Z21hipblaslt_init_deviceIDF16_Ev8ABC_dims24hipblaslt_initializationbPT_mmmmmEUlmE9_EvS4_mmT0_.has_dyn_sized_stack, 0
	.set _Z11fill_kernelIDF16_Z21hipblaslt_init_deviceIDF16_Ev8ABC_dims24hipblaslt_initializationbPT_mmmmmEUlmE9_EvS4_mmT0_.has_recursion, 0
	.set _Z11fill_kernelIDF16_Z21hipblaslt_init_deviceIDF16_Ev8ABC_dims24hipblaslt_initializationbPT_mmmmmEUlmE9_EvS4_mmT0_.has_indirect_call, 0
	.section	.AMDGPU.csdata,"",@progbits
; Kernel info:
; codeLenInByte = 1588
; TotalNumSgprs: 12
; NumVgprs: 22
; ScratchSize: 0
; MemoryBound: 0
; FloatMode: 240
; IeeeMode: 1
; LDSByteSize: 0 bytes/workgroup (compile time only)
; SGPRBlocks: 0
; VGPRBlocks: 1
; NumSGPRsForWavesPerEU: 12
; NumVGPRsForWavesPerEU: 22
; NamedBarCnt: 0
; Occupancy: 16
; WaveLimiterHint : 0
; COMPUTE_PGM_RSRC2:SCRATCH_EN: 0
; COMPUTE_PGM_RSRC2:USER_SGPR: 2
; COMPUTE_PGM_RSRC2:TRAP_HANDLER: 0
; COMPUTE_PGM_RSRC2:TGID_X_EN: 1
; COMPUTE_PGM_RSRC2:TGID_Y_EN: 0
; COMPUTE_PGM_RSRC2:TGID_Z_EN: 0
; COMPUTE_PGM_RSRC2:TIDIG_COMP_CNT: 0
	.section	.text._Z11fill_kernelI12hip_bfloat16Z21hipblaslt_init_deviceIS0_Ev8ABC_dims24hipblaslt_initializationbPT_mmmmmEUlmE_EvS5_mmT0_,"axG",@progbits,_Z11fill_kernelI12hip_bfloat16Z21hipblaslt_init_deviceIS0_Ev8ABC_dims24hipblaslt_initializationbPT_mmmmmEUlmE_EvS5_mmT0_,comdat
	.protected	_Z11fill_kernelI12hip_bfloat16Z21hipblaslt_init_deviceIS0_Ev8ABC_dims24hipblaslt_initializationbPT_mmmmmEUlmE_EvS5_mmT0_ ; -- Begin function _Z11fill_kernelI12hip_bfloat16Z21hipblaslt_init_deviceIS0_Ev8ABC_dims24hipblaslt_initializationbPT_mmmmmEUlmE_EvS5_mmT0_
	.globl	_Z11fill_kernelI12hip_bfloat16Z21hipblaslt_init_deviceIS0_Ev8ABC_dims24hipblaslt_initializationbPT_mmmmmEUlmE_EvS5_mmT0_
	.p2align	8
	.type	_Z11fill_kernelI12hip_bfloat16Z21hipblaslt_init_deviceIS0_Ev8ABC_dims24hipblaslt_initializationbPT_mmmmmEUlmE_EvS5_mmT0_,@function
_Z11fill_kernelI12hip_bfloat16Z21hipblaslt_init_deviceIS0_Ev8ABC_dims24hipblaslt_initializationbPT_mmmmmEUlmE_EvS5_mmT0_: ; @_Z11fill_kernelI12hip_bfloat16Z21hipblaslt_init_deviceIS0_Ev8ABC_dims24hipblaslt_initializationbPT_mmmmmEUlmE_EvS5_mmT0_
; %bb.0:
	s_clause 0x1
	s_load_b32 s2, s[0:1], 0xec
	s_load_b128 s[4:7], s[0:1], 0x0
	s_bfe_u32 s3, ttmp6, 0x4000c
	s_and_b32 s8, ttmp6, 15
	s_add_co_i32 s3, s3, 1
	s_getreg_b32 s9, hwreg(HW_REG_IB_STS2, 6, 4)
	s_mul_i32 s3, ttmp9, s3
	v_mov_b32_e32 v1, 0
	s_add_co_i32 s8, s8, s3
	s_wait_kmcnt 0x0
	s_and_b32 s2, s2, 0xffff
	s_cmp_eq_u32 s9, 0
	s_cselect_b32 s3, ttmp9, s8
	s_delay_alu instid0(SALU_CYCLE_1) | instskip(SKIP_1) | instid1(VALU_DEP_1)
	v_mad_u32 v0, s3, s2, v0
	s_mov_b32 s2, exec_lo
	v_cmpx_gt_u64_e64 s[6:7], v[0:1]
	s_cbranch_execz .LBB33_2
; %bb.1:
	s_load_b64 s[2:3], s[0:1], 0x10
	s_wait_kmcnt 0x0
	v_add_nc_u64_e32 v[0:1], s[2:3], v[0:1]
	s_mov_b32 s2, 0x19660d
	s_delay_alu instid0(VALU_DEP_1) | instid1(SALU_CYCLE_1)
	v_mad_nc_u64_u32 v[2:3], v0, s2, 0x3c6ef35f
	s_delay_alu instid0(VALU_DEP_1) | instskip(SKIP_1) | instid1(VALU_DEP_2)
	v_mad_u32 v3, 0x19660d, v1, v3
	v_lshl_add_u64 v[0:1], v[0:1], 1, s[4:5]
	v_lshlrev_b64_e32 v[4:5], 13, v[2:3]
	s_delay_alu instid0(VALU_DEP_1) | instskip(NEXT) | instid1(VALU_DEP_2)
	v_xor_b32_e32 v3, v5, v3
	v_xor_b32_e32 v2, v4, v2
	s_delay_alu instid0(VALU_DEP_1) | instskip(NEXT) | instid1(VALU_DEP_1)
	v_lshrrev_b64 v[4:5], 17, v[2:3]
	v_xor_b32_e32 v3, v5, v3
	s_delay_alu instid0(VALU_DEP_2) | instskip(NEXT) | instid1(VALU_DEP_1)
	v_xor_b32_e32 v2, v4, v2
	v_lshlrev_b64_e32 v[4:5], 5, v[2:3]
	s_delay_alu instid0(VALU_DEP_1) | instskip(NEXT) | instid1(VALU_DEP_2)
	v_xor_b32_e32 v3, v5, v3
	v_xor_b32_e32 v2, v4, v2
	s_delay_alu instid0(VALU_DEP_1) | instskip(NEXT) | instid1(VALU_DEP_1)
	v_lshlrev_b64_e32 v[4:5], 13, v[2:3]
	v_xor_b32_e32 v3, v5, v3
	s_delay_alu instid0(VALU_DEP_2) | instskip(NEXT) | instid1(VALU_DEP_1)
	v_xor_b32_e32 v2, v4, v2
	v_lshrrev_b64 v[4:5], 17, v[2:3]
	s_delay_alu instid0(VALU_DEP_1) | instskip(NEXT) | instid1(VALU_DEP_2)
	v_xor_b32_e32 v3, v5, v3
	v_xor_b32_e32 v2, v4, v2
	s_delay_alu instid0(VALU_DEP_1) | instskip(NEXT) | instid1(VALU_DEP_1)
	v_lshlrev_b64_e32 v[4:5], 5, v[2:3]
	v_xor_b32_e32 v3, v5, v3
	s_delay_alu instid0(VALU_DEP_2) | instskip(NEXT) | instid1(VALU_DEP_1)
	v_xor_b32_e32 v2, v4, v2
	v_lshlrev_b64_e32 v[4:5], 13, v[2:3]
	s_delay_alu instid0(VALU_DEP_1) | instskip(NEXT) | instid1(VALU_DEP_2)
	v_xor_b32_e32 v3, v5, v3
	v_xor_b32_e32 v2, v4, v2
	s_delay_alu instid0(VALU_DEP_1) | instskip(NEXT) | instid1(VALU_DEP_1)
	v_alignbit_b32 v3, v3, v2, 17
	v_xor_b32_e32 v2, v3, v2
	s_delay_alu instid0(VALU_DEP_1) | instskip(NEXT) | instid1(VALU_DEP_1)
	v_lshlrev_b32_e32 v3, 5, v2
	v_xor_b32_e32 v2, v3, v2
	s_delay_alu instid0(VALU_DEP_1) | instskip(NEXT) | instid1(VALU_DEP_1)
	v_mul_hi_u32 v3, 0x51eb851f, v2
	v_lshrrev_b32_e32 v3, 5, v3
	s_delay_alu instid0(VALU_DEP_1) | instskip(NEXT) | instid1(VALU_DEP_1)
	v_mul_lo_u32 v3, 0x64, v3
	v_sub_nc_u32_e32 v2, v2, v3
	global_load_u16 v2, v2, s[0:1] offset:24 scale_offset
	s_wait_loadcnt 0x0
	global_store_b16 v[0:1], v2, off
.LBB33_2:
	s_endpgm
	.section	.rodata,"a",@progbits
	.p2align	6, 0x0
	.amdhsa_kernel _Z11fill_kernelI12hip_bfloat16Z21hipblaslt_init_deviceIS0_Ev8ABC_dims24hipblaslt_initializationbPT_mmmmmEUlmE_EvS5_mmT0_
		.amdhsa_group_segment_fixed_size 0
		.amdhsa_private_segment_fixed_size 0
		.amdhsa_kernarg_size 480
		.amdhsa_user_sgpr_count 2
		.amdhsa_user_sgpr_dispatch_ptr 0
		.amdhsa_user_sgpr_queue_ptr 0
		.amdhsa_user_sgpr_kernarg_segment_ptr 1
		.amdhsa_user_sgpr_dispatch_id 0
		.amdhsa_user_sgpr_kernarg_preload_length 0
		.amdhsa_user_sgpr_kernarg_preload_offset 0
		.amdhsa_user_sgpr_private_segment_size 0
		.amdhsa_wavefront_size32 1
		.amdhsa_uses_dynamic_stack 0
		.amdhsa_enable_private_segment 0
		.amdhsa_system_sgpr_workgroup_id_x 1
		.amdhsa_system_sgpr_workgroup_id_y 0
		.amdhsa_system_sgpr_workgroup_id_z 0
		.amdhsa_system_sgpr_workgroup_info 0
		.amdhsa_system_vgpr_workitem_id 0
		.amdhsa_next_free_vgpr 6
		.amdhsa_next_free_sgpr 10
		.amdhsa_named_barrier_count 0
		.amdhsa_reserve_vcc 0
		.amdhsa_float_round_mode_32 0
		.amdhsa_float_round_mode_16_64 0
		.amdhsa_float_denorm_mode_32 3
		.amdhsa_float_denorm_mode_16_64 3
		.amdhsa_fp16_overflow 0
		.amdhsa_memory_ordered 1
		.amdhsa_forward_progress 1
		.amdhsa_inst_pref_size 4
		.amdhsa_round_robin_scheduling 0
		.amdhsa_exception_fp_ieee_invalid_op 0
		.amdhsa_exception_fp_denorm_src 0
		.amdhsa_exception_fp_ieee_div_zero 0
		.amdhsa_exception_fp_ieee_overflow 0
		.amdhsa_exception_fp_ieee_underflow 0
		.amdhsa_exception_fp_ieee_inexact 0
		.amdhsa_exception_int_div_zero 0
	.end_amdhsa_kernel
	.section	.text._Z11fill_kernelI12hip_bfloat16Z21hipblaslt_init_deviceIS0_Ev8ABC_dims24hipblaslt_initializationbPT_mmmmmEUlmE_EvS5_mmT0_,"axG",@progbits,_Z11fill_kernelI12hip_bfloat16Z21hipblaslt_init_deviceIS0_Ev8ABC_dims24hipblaslt_initializationbPT_mmmmmEUlmE_EvS5_mmT0_,comdat
.Lfunc_end33:
	.size	_Z11fill_kernelI12hip_bfloat16Z21hipblaslt_init_deviceIS0_Ev8ABC_dims24hipblaslt_initializationbPT_mmmmmEUlmE_EvS5_mmT0_, .Lfunc_end33-_Z11fill_kernelI12hip_bfloat16Z21hipblaslt_init_deviceIS0_Ev8ABC_dims24hipblaslt_initializationbPT_mmmmmEUlmE_EvS5_mmT0_
                                        ; -- End function
	.set _Z11fill_kernelI12hip_bfloat16Z21hipblaslt_init_deviceIS0_Ev8ABC_dims24hipblaslt_initializationbPT_mmmmmEUlmE_EvS5_mmT0_.num_vgpr, 6
	.set _Z11fill_kernelI12hip_bfloat16Z21hipblaslt_init_deviceIS0_Ev8ABC_dims24hipblaslt_initializationbPT_mmmmmEUlmE_EvS5_mmT0_.num_agpr, 0
	.set _Z11fill_kernelI12hip_bfloat16Z21hipblaslt_init_deviceIS0_Ev8ABC_dims24hipblaslt_initializationbPT_mmmmmEUlmE_EvS5_mmT0_.numbered_sgpr, 10
	.set _Z11fill_kernelI12hip_bfloat16Z21hipblaslt_init_deviceIS0_Ev8ABC_dims24hipblaslt_initializationbPT_mmmmmEUlmE_EvS5_mmT0_.num_named_barrier, 0
	.set _Z11fill_kernelI12hip_bfloat16Z21hipblaslt_init_deviceIS0_Ev8ABC_dims24hipblaslt_initializationbPT_mmmmmEUlmE_EvS5_mmT0_.private_seg_size, 0
	.set _Z11fill_kernelI12hip_bfloat16Z21hipblaslt_init_deviceIS0_Ev8ABC_dims24hipblaslt_initializationbPT_mmmmmEUlmE_EvS5_mmT0_.uses_vcc, 0
	.set _Z11fill_kernelI12hip_bfloat16Z21hipblaslt_init_deviceIS0_Ev8ABC_dims24hipblaslt_initializationbPT_mmmmmEUlmE_EvS5_mmT0_.uses_flat_scratch, 0
	.set _Z11fill_kernelI12hip_bfloat16Z21hipblaslt_init_deviceIS0_Ev8ABC_dims24hipblaslt_initializationbPT_mmmmmEUlmE_EvS5_mmT0_.has_dyn_sized_stack, 0
	.set _Z11fill_kernelI12hip_bfloat16Z21hipblaslt_init_deviceIS0_Ev8ABC_dims24hipblaslt_initializationbPT_mmmmmEUlmE_EvS5_mmT0_.has_recursion, 0
	.set _Z11fill_kernelI12hip_bfloat16Z21hipblaslt_init_deviceIS0_Ev8ABC_dims24hipblaslt_initializationbPT_mmmmmEUlmE_EvS5_mmT0_.has_indirect_call, 0
	.section	.AMDGPU.csdata,"",@progbits
; Kernel info:
; codeLenInByte = 396
; TotalNumSgprs: 10
; NumVgprs: 6
; ScratchSize: 0
; MemoryBound: 0
; FloatMode: 240
; IeeeMode: 1
; LDSByteSize: 0 bytes/workgroup (compile time only)
; SGPRBlocks: 0
; VGPRBlocks: 0
; NumSGPRsForWavesPerEU: 10
; NumVGPRsForWavesPerEU: 6
; NamedBarCnt: 0
; Occupancy: 16
; WaveLimiterHint : 0
; COMPUTE_PGM_RSRC2:SCRATCH_EN: 0
; COMPUTE_PGM_RSRC2:USER_SGPR: 2
; COMPUTE_PGM_RSRC2:TRAP_HANDLER: 0
; COMPUTE_PGM_RSRC2:TGID_X_EN: 1
; COMPUTE_PGM_RSRC2:TGID_Y_EN: 0
; COMPUTE_PGM_RSRC2:TGID_Z_EN: 0
; COMPUTE_PGM_RSRC2:TIDIG_COMP_CNT: 0
	.section	.text._Z11fill_kernelI12hip_bfloat16Z21hipblaslt_init_deviceIS0_Ev8ABC_dims24hipblaslt_initializationbPT_mmmmmEUlmE0_EvS5_mmT0_,"axG",@progbits,_Z11fill_kernelI12hip_bfloat16Z21hipblaslt_init_deviceIS0_Ev8ABC_dims24hipblaslt_initializationbPT_mmmmmEUlmE0_EvS5_mmT0_,comdat
	.protected	_Z11fill_kernelI12hip_bfloat16Z21hipblaslt_init_deviceIS0_Ev8ABC_dims24hipblaslt_initializationbPT_mmmmmEUlmE0_EvS5_mmT0_ ; -- Begin function _Z11fill_kernelI12hip_bfloat16Z21hipblaslt_init_deviceIS0_Ev8ABC_dims24hipblaslt_initializationbPT_mmmmmEUlmE0_EvS5_mmT0_
	.globl	_Z11fill_kernelI12hip_bfloat16Z21hipblaslt_init_deviceIS0_Ev8ABC_dims24hipblaslt_initializationbPT_mmmmmEUlmE0_EvS5_mmT0_
	.p2align	8
	.type	_Z11fill_kernelI12hip_bfloat16Z21hipblaslt_init_deviceIS0_Ev8ABC_dims24hipblaslt_initializationbPT_mmmmmEUlmE0_EvS5_mmT0_,@function
_Z11fill_kernelI12hip_bfloat16Z21hipblaslt_init_deviceIS0_Ev8ABC_dims24hipblaslt_initializationbPT_mmmmmEUlmE0_EvS5_mmT0_: ; @_Z11fill_kernelI12hip_bfloat16Z21hipblaslt_init_deviceIS0_Ev8ABC_dims24hipblaslt_initializationbPT_mmmmmEUlmE0_EvS5_mmT0_
; %bb.0:
	s_clause 0x1
	s_load_b32 s2, s[0:1], 0x2c
	s_load_b128 s[4:7], s[0:1], 0x0
	s_bfe_u32 s3, ttmp6, 0x4000c
	s_and_b32 s8, ttmp6, 15
	s_add_co_i32 s3, s3, 1
	s_getreg_b32 s9, hwreg(HW_REG_IB_STS2, 6, 4)
	s_mul_i32 s3, ttmp9, s3
	v_mov_b32_e32 v1, 0
	s_add_co_i32 s8, s8, s3
	s_wait_kmcnt 0x0
	s_and_b32 s2, s2, 0xffff
	s_cmp_eq_u32 s9, 0
	s_cselect_b32 s3, ttmp9, s8
	s_delay_alu instid0(SALU_CYCLE_1) | instskip(SKIP_1) | instid1(VALU_DEP_1)
	v_mad_u32 v0, s3, s2, v0
	s_mov_b32 s2, exec_lo
	v_cmpx_gt_u64_e64 s[6:7], v[0:1]
	s_cbranch_execz .LBB34_6
; %bb.1:
	s_load_b64 s[0:1], s[0:1], 0x10
	s_wait_kmcnt 0x0
	v_add_nc_u64_e32 v[0:1], s[0:1], v[0:1]
	s_mov_b32 s0, 0x19660d
	s_delay_alu instid0(VALU_DEP_1) | instid1(SALU_CYCLE_1)
	v_mad_nc_u64_u32 v[2:3], v0, s0, 0x3c6ef35f
	s_delay_alu instid0(VALU_DEP_1) | instskip(NEXT) | instid1(VALU_DEP_1)
	v_mad_u32 v3, 0x19660d, v1, v3
	v_lshlrev_b64_e32 v[4:5], 13, v[2:3]
	s_delay_alu instid0(VALU_DEP_1) | instskip(NEXT) | instid1(VALU_DEP_2)
	v_xor_b32_e32 v3, v5, v3
	v_xor_b32_e32 v2, v4, v2
	s_delay_alu instid0(VALU_DEP_1) | instskip(NEXT) | instid1(VALU_DEP_1)
	v_lshrrev_b64 v[4:5], 17, v[2:3]
	v_xor_b32_e32 v3, v5, v3
	s_delay_alu instid0(VALU_DEP_2) | instskip(NEXT) | instid1(VALU_DEP_1)
	v_xor_b32_e32 v2, v4, v2
	v_lshlrev_b64_e32 v[4:5], 5, v[2:3]
	s_delay_alu instid0(VALU_DEP_1) | instskip(NEXT) | instid1(VALU_DEP_2)
	v_xor_b32_e32 v3, v5, v3
	v_xor_b32_e32 v2, v4, v2
	s_delay_alu instid0(VALU_DEP_1) | instskip(NEXT) | instid1(VALU_DEP_1)
	v_lshlrev_b64_e32 v[4:5], 13, v[2:3]
	v_xor_b32_e32 v3, v5, v3
	s_delay_alu instid0(VALU_DEP_2) | instskip(NEXT) | instid1(VALU_DEP_1)
	v_xor_b32_e32 v2, v4, v2
	v_lshrrev_b64 v[4:5], 17, v[2:3]
	s_delay_alu instid0(VALU_DEP_1) | instskip(NEXT) | instid1(VALU_DEP_2)
	v_xor_b32_e32 v3, v5, v3
	v_xor_b32_e32 v2, v4, v2
	s_delay_alu instid0(VALU_DEP_1) | instskip(NEXT) | instid1(VALU_DEP_1)
	v_lshlrev_b64_e32 v[4:5], 5, v[2:3]
	v_xor_b32_e32 v3, v5, v3
	s_delay_alu instid0(VALU_DEP_2) | instskip(NEXT) | instid1(VALU_DEP_1)
	v_xor_b32_e32 v2, v4, v2
	v_lshlrev_b64_e32 v[4:5], 13, v[2:3]
	s_delay_alu instid0(VALU_DEP_1) | instskip(NEXT) | instid1(VALU_DEP_2)
	v_xor_b32_e32 v3, v5, v3
	v_xor_b32_e32 v2, v4, v2
	s_delay_alu instid0(VALU_DEP_1) | instskip(NEXT) | instid1(VALU_DEP_1)
	v_alignbit_b32 v3, v3, v2, 17
	v_xor_b32_e32 v2, v3, v2
	s_delay_alu instid0(VALU_DEP_1) | instskip(NEXT) | instid1(VALU_DEP_1)
	v_lshlrev_b32_e32 v3, 5, v2
	v_xor_b32_e32 v2, v3, v2
	s_delay_alu instid0(VALU_DEP_1) | instskip(NEXT) | instid1(VALU_DEP_1)
	v_mul_hi_u32 v3, 0xcccccccd, v2
	v_lshrrev_b32_e32 v3, 2, v3
	s_delay_alu instid0(VALU_DEP_1) | instskip(NEXT) | instid1(VALU_DEP_1)
	v_lshl_add_u32 v3, v3, 2, v3
	v_sub_nc_u32_e32 v2, v2, v3
	s_delay_alu instid0(VALU_DEP_1) | instskip(NEXT) | instid1(VALU_DEP_1)
	v_add_nc_u32_e32 v2, -2, v2
	v_cvt_f32_i32_e32 v3, v2
	s_delay_alu instid0(VALU_DEP_1) | instskip(NEXT) | instid1(VALU_DEP_1)
	v_and_b32_e32 v2, 0x7f800000, v3
	v_cmp_ne_u32_e32 vcc_lo, 0x7f800000, v2
                                        ; implicit-def: $vgpr2
	s_and_saveexec_b32 s0, vcc_lo
	s_delay_alu instid0(SALU_CYCLE_1)
	s_xor_b32 s0, exec_lo, s0
; %bb.2:
	v_bfe_u32 v2, v3, 16, 1
	s_delay_alu instid0(VALU_DEP_1)
	v_add3_u32 v2, v3, v2, 0x7fff
                                        ; implicit-def: $vgpr3
; %bb.3:
	s_and_not1_saveexec_b32 s0, s0
; %bb.4:
	v_and_b32_e32 v2, 0xffff, v3
	v_or_b32_e32 v4, 0x10000, v3
	s_delay_alu instid0(VALU_DEP_2) | instskip(NEXT) | instid1(VALU_DEP_2)
	v_cmp_eq_u32_e32 vcc_lo, 0, v2
	v_cndmask_b32_e32 v2, v4, v3, vcc_lo
; %bb.5:
	s_or_b32 exec_lo, exec_lo, s0
	v_lshl_add_u64 v[0:1], v[0:1], 1, s[4:5]
	global_store_d16_hi_b16 v[0:1], v2, off
.LBB34_6:
	s_endpgm
	.section	.rodata,"a",@progbits
	.p2align	6, 0x0
	.amdhsa_kernel _Z11fill_kernelI12hip_bfloat16Z21hipblaslt_init_deviceIS0_Ev8ABC_dims24hipblaslt_initializationbPT_mmmmmEUlmE0_EvS5_mmT0_
		.amdhsa_group_segment_fixed_size 0
		.amdhsa_private_segment_fixed_size 0
		.amdhsa_kernarg_size 288
		.amdhsa_user_sgpr_count 2
		.amdhsa_user_sgpr_dispatch_ptr 0
		.amdhsa_user_sgpr_queue_ptr 0
		.amdhsa_user_sgpr_kernarg_segment_ptr 1
		.amdhsa_user_sgpr_dispatch_id 0
		.amdhsa_user_sgpr_kernarg_preload_length 0
		.amdhsa_user_sgpr_kernarg_preload_offset 0
		.amdhsa_user_sgpr_private_segment_size 0
		.amdhsa_wavefront_size32 1
		.amdhsa_uses_dynamic_stack 0
		.amdhsa_enable_private_segment 0
		.amdhsa_system_sgpr_workgroup_id_x 1
		.amdhsa_system_sgpr_workgroup_id_y 0
		.amdhsa_system_sgpr_workgroup_id_z 0
		.amdhsa_system_sgpr_workgroup_info 0
		.amdhsa_system_vgpr_workitem_id 0
		.amdhsa_next_free_vgpr 6
		.amdhsa_next_free_sgpr 10
		.amdhsa_named_barrier_count 0
		.amdhsa_reserve_vcc 1
		.amdhsa_float_round_mode_32 0
		.amdhsa_float_round_mode_16_64 0
		.amdhsa_float_denorm_mode_32 3
		.amdhsa_float_denorm_mode_16_64 3
		.amdhsa_fp16_overflow 0
		.amdhsa_memory_ordered 1
		.amdhsa_forward_progress 1
		.amdhsa_inst_pref_size 4
		.amdhsa_round_robin_scheduling 0
		.amdhsa_exception_fp_ieee_invalid_op 0
		.amdhsa_exception_fp_denorm_src 0
		.amdhsa_exception_fp_ieee_div_zero 0
		.amdhsa_exception_fp_ieee_overflow 0
		.amdhsa_exception_fp_ieee_underflow 0
		.amdhsa_exception_fp_ieee_inexact 0
		.amdhsa_exception_int_div_zero 0
	.end_amdhsa_kernel
	.section	.text._Z11fill_kernelI12hip_bfloat16Z21hipblaslt_init_deviceIS0_Ev8ABC_dims24hipblaslt_initializationbPT_mmmmmEUlmE0_EvS5_mmT0_,"axG",@progbits,_Z11fill_kernelI12hip_bfloat16Z21hipblaslt_init_deviceIS0_Ev8ABC_dims24hipblaslt_initializationbPT_mmmmmEUlmE0_EvS5_mmT0_,comdat
.Lfunc_end34:
	.size	_Z11fill_kernelI12hip_bfloat16Z21hipblaslt_init_deviceIS0_Ev8ABC_dims24hipblaslt_initializationbPT_mmmmmEUlmE0_EvS5_mmT0_, .Lfunc_end34-_Z11fill_kernelI12hip_bfloat16Z21hipblaslt_init_deviceIS0_Ev8ABC_dims24hipblaslt_initializationbPT_mmmmmEUlmE0_EvS5_mmT0_
                                        ; -- End function
	.set _Z11fill_kernelI12hip_bfloat16Z21hipblaslt_init_deviceIS0_Ev8ABC_dims24hipblaslt_initializationbPT_mmmmmEUlmE0_EvS5_mmT0_.num_vgpr, 6
	.set _Z11fill_kernelI12hip_bfloat16Z21hipblaslt_init_deviceIS0_Ev8ABC_dims24hipblaslt_initializationbPT_mmmmmEUlmE0_EvS5_mmT0_.num_agpr, 0
	.set _Z11fill_kernelI12hip_bfloat16Z21hipblaslt_init_deviceIS0_Ev8ABC_dims24hipblaslt_initializationbPT_mmmmmEUlmE0_EvS5_mmT0_.numbered_sgpr, 10
	.set _Z11fill_kernelI12hip_bfloat16Z21hipblaslt_init_deviceIS0_Ev8ABC_dims24hipblaslt_initializationbPT_mmmmmEUlmE0_EvS5_mmT0_.num_named_barrier, 0
	.set _Z11fill_kernelI12hip_bfloat16Z21hipblaslt_init_deviceIS0_Ev8ABC_dims24hipblaslt_initializationbPT_mmmmmEUlmE0_EvS5_mmT0_.private_seg_size, 0
	.set _Z11fill_kernelI12hip_bfloat16Z21hipblaslt_init_deviceIS0_Ev8ABC_dims24hipblaslt_initializationbPT_mmmmmEUlmE0_EvS5_mmT0_.uses_vcc, 1
	.set _Z11fill_kernelI12hip_bfloat16Z21hipblaslt_init_deviceIS0_Ev8ABC_dims24hipblaslt_initializationbPT_mmmmmEUlmE0_EvS5_mmT0_.uses_flat_scratch, 0
	.set _Z11fill_kernelI12hip_bfloat16Z21hipblaslt_init_deviceIS0_Ev8ABC_dims24hipblaslt_initializationbPT_mmmmmEUlmE0_EvS5_mmT0_.has_dyn_sized_stack, 0
	.set _Z11fill_kernelI12hip_bfloat16Z21hipblaslt_init_deviceIS0_Ev8ABC_dims24hipblaslt_initializationbPT_mmmmmEUlmE0_EvS5_mmT0_.has_recursion, 0
	.set _Z11fill_kernelI12hip_bfloat16Z21hipblaslt_init_deviceIS0_Ev8ABC_dims24hipblaslt_initializationbPT_mmmmmEUlmE0_EvS5_mmT0_.has_indirect_call, 0
	.section	.AMDGPU.csdata,"",@progbits
; Kernel info:
; codeLenInByte = 480
; TotalNumSgprs: 12
; NumVgprs: 6
; ScratchSize: 0
; MemoryBound: 0
; FloatMode: 240
; IeeeMode: 1
; LDSByteSize: 0 bytes/workgroup (compile time only)
; SGPRBlocks: 0
; VGPRBlocks: 0
; NumSGPRsForWavesPerEU: 12
; NumVGPRsForWavesPerEU: 6
; NamedBarCnt: 0
; Occupancy: 16
; WaveLimiterHint : 0
; COMPUTE_PGM_RSRC2:SCRATCH_EN: 0
; COMPUTE_PGM_RSRC2:USER_SGPR: 2
; COMPUTE_PGM_RSRC2:TRAP_HANDLER: 0
; COMPUTE_PGM_RSRC2:TGID_X_EN: 1
; COMPUTE_PGM_RSRC2:TGID_Y_EN: 0
; COMPUTE_PGM_RSRC2:TGID_Z_EN: 0
; COMPUTE_PGM_RSRC2:TIDIG_COMP_CNT: 0
	.section	.text._Z11fill_kernelI12hip_bfloat16Z21hipblaslt_init_deviceIS0_Ev8ABC_dims24hipblaslt_initializationbPT_mmmmmEUlmE1_EvS5_mmT0_,"axG",@progbits,_Z11fill_kernelI12hip_bfloat16Z21hipblaslt_init_deviceIS0_Ev8ABC_dims24hipblaslt_initializationbPT_mmmmmEUlmE1_EvS5_mmT0_,comdat
	.protected	_Z11fill_kernelI12hip_bfloat16Z21hipblaslt_init_deviceIS0_Ev8ABC_dims24hipblaslt_initializationbPT_mmmmmEUlmE1_EvS5_mmT0_ ; -- Begin function _Z11fill_kernelI12hip_bfloat16Z21hipblaslt_init_deviceIS0_Ev8ABC_dims24hipblaslt_initializationbPT_mmmmmEUlmE1_EvS5_mmT0_
	.globl	_Z11fill_kernelI12hip_bfloat16Z21hipblaslt_init_deviceIS0_Ev8ABC_dims24hipblaslt_initializationbPT_mmmmmEUlmE1_EvS5_mmT0_
	.p2align	8
	.type	_Z11fill_kernelI12hip_bfloat16Z21hipblaslt_init_deviceIS0_Ev8ABC_dims24hipblaslt_initializationbPT_mmmmmEUlmE1_EvS5_mmT0_,@function
_Z11fill_kernelI12hip_bfloat16Z21hipblaslt_init_deviceIS0_Ev8ABC_dims24hipblaslt_initializationbPT_mmmmmEUlmE1_EvS5_mmT0_: ; @_Z11fill_kernelI12hip_bfloat16Z21hipblaslt_init_deviceIS0_Ev8ABC_dims24hipblaslt_initializationbPT_mmmmmEUlmE1_EvS5_mmT0_
; %bb.0:
	s_load_b32 s2, s[0:1], 0x34
	s_bfe_u32 s12, ttmp6, 0x4000c
	s_load_b256 s[4:11], s[0:1], 0x0
	s_add_co_i32 s12, s12, 1
	s_and_b32 s3, ttmp6, 15
	s_mul_i32 s12, ttmp9, s12
	s_getreg_b32 s13, hwreg(HW_REG_IB_STS2, 6, 4)
	s_add_co_i32 s3, s3, s12
	v_mov_b32_e32 v1, 0
	s_wait_kmcnt 0x0
	s_and_b32 s2, s2, 0xffff
	s_cmp_eq_u32 s13, 0
	s_cselect_b32 s3, ttmp9, s3
	s_delay_alu instid0(SALU_CYCLE_1) | instskip(SKIP_1) | instid1(VALU_DEP_1)
	v_mad_u32 v0, s3, s2, v0
	s_mov_b32 s2, exec_lo
	v_cmpx_gt_u64_e64 s[6:7], v[0:1]
	s_cbranch_execz .LBB35_14
; %bb.1:
	v_add_nc_u64_e32 v[0:1], s[8:9], v[0:1]
	s_mov_b32 s2, 0x19660d
                                        ; implicit-def: $vgpr8
	s_delay_alu instid0(VALU_DEP_1) | instid1(SALU_CYCLE_1)
	v_mad_nc_u64_u32 v[2:3], v0, s2, 0x3c6ef35f
	s_load_b64 s[2:3], s[0:1], 0x20
	s_wait_xcnt 0x0
	s_mov_b32 s0, exec_lo
	s_delay_alu instid0(VALU_DEP_1) | instskip(NEXT) | instid1(VALU_DEP_1)
	v_mad_u32 v3, 0x19660d, v1, v3
	v_lshlrev_b64_e32 v[4:5], 13, v[2:3]
	s_delay_alu instid0(VALU_DEP_1) | instskip(NEXT) | instid1(VALU_DEP_2)
	v_xor_b32_e32 v3, v5, v3
	v_xor_b32_e32 v2, v4, v2
	s_delay_alu instid0(VALU_DEP_1) | instskip(NEXT) | instid1(VALU_DEP_1)
	v_lshrrev_b64 v[4:5], 17, v[2:3]
	v_xor_b32_e32 v3, v5, v3
	s_delay_alu instid0(VALU_DEP_2) | instskip(NEXT) | instid1(VALU_DEP_1)
	v_xor_b32_e32 v2, v4, v2
	v_lshlrev_b64_e32 v[4:5], 5, v[2:3]
	s_delay_alu instid0(VALU_DEP_1) | instskip(NEXT) | instid1(VALU_DEP_2)
	v_xor_b32_e32 v3, v5, v3
	v_xor_b32_e32 v2, v4, v2
	s_delay_alu instid0(VALU_DEP_1) | instskip(NEXT) | instid1(VALU_DEP_1)
	v_lshlrev_b64_e32 v[4:5], 13, v[2:3]
	v_xor_b32_e32 v3, v5, v3
	s_delay_alu instid0(VALU_DEP_2) | instskip(NEXT) | instid1(VALU_DEP_1)
	v_xor_b32_e32 v2, v4, v2
	v_lshrrev_b64 v[4:5], 17, v[2:3]
	s_delay_alu instid0(VALU_DEP_1) | instskip(NEXT) | instid1(VALU_DEP_2)
	v_xor_b32_e32 v3, v5, v3
	v_xor_b32_e32 v2, v4, v2
	s_delay_alu instid0(VALU_DEP_1) | instskip(NEXT) | instid1(VALU_DEP_1)
	v_lshlrev_b64_e32 v[4:5], 5, v[2:3]
	v_xor_b32_e32 v3, v5, v3
	s_delay_alu instid0(VALU_DEP_2) | instskip(NEXT) | instid1(VALU_DEP_1)
	v_xor_b32_e32 v2, v4, v2
	v_lshlrev_b64_e32 v[4:5], 13, v[2:3]
	s_delay_alu instid0(VALU_DEP_1) | instskip(NEXT) | instid1(VALU_DEP_2)
	v_xor_b32_e32 v3, v5, v3
	v_xor_b32_e32 v2, v4, v2
	s_delay_alu instid0(VALU_DEP_1) | instskip(NEXT) | instid1(VALU_DEP_1)
	v_alignbit_b32 v3, v3, v2, 17
	v_xor_b32_e32 v2, v3, v2
	s_delay_alu instid0(VALU_DEP_1) | instskip(NEXT) | instid1(VALU_DEP_1)
	v_lshlrev_b32_e32 v3, 5, v2
	v_xor_b32_e32 v2, v3, v2
	s_delay_alu instid0(VALU_DEP_1) | instskip(NEXT) | instid1(VALU_DEP_1)
	v_mul_hi_u32 v3, 0xcccccccd, v2
	v_lshrrev_b32_e32 v3, 2, v3
	s_delay_alu instid0(VALU_DEP_1) | instskip(NEXT) | instid1(VALU_DEP_1)
	v_lshl_add_u32 v3, v3, 2, v3
	v_sub_nc_u32_e32 v2, v2, v3
	s_delay_alu instid0(VALU_DEP_1) | instskip(NEXT) | instid1(VALU_DEP_1)
	v_add_nc_u32_e32 v2, -2, v2
	v_cvt_f32_i32_e32 v2, v2
	s_delay_alu instid0(VALU_DEP_1) | instskip(NEXT) | instid1(VALU_DEP_1)
	v_and_b32_e32 v3, 0x7f800000, v2
	v_cmpx_ne_u32_e32 0x7f800000, v3
	s_xor_b32 s0, exec_lo, s0
; %bb.2:
	v_bfe_u32 v3, v2, 16, 1
	s_delay_alu instid0(VALU_DEP_1)
	v_add3_u32 v8, v2, v3, 0x7fff
                                        ; implicit-def: $vgpr2
; %bb.3:
	s_and_not1_saveexec_b32 s0, s0
; %bb.4:
	v_and_b32_e32 v3, 0xffff, v2
	v_or_b32_e32 v4, 0x10000, v2
	s_delay_alu instid0(VALU_DEP_2) | instskip(NEXT) | instid1(VALU_DEP_2)
	v_cmp_eq_u32_e32 vcc_lo, 0, v3
	v_cndmask_b32_e32 v8, v4, v2, vcc_lo
; %bb.5:
	s_or_b32 exec_lo, exec_lo, s0
	v_dual_mov_b32 v4, 0 :: v_dual_bitop2_b32 v5, s11, v1 bitop3:0x54
                                        ; implicit-def: $vgpr2_vgpr3
	s_mov_b32 s0, exec_lo
	s_delay_alu instid0(VALU_DEP_1)
	v_cmpx_ne_u64_e32 0, v[4:5]
	s_xor_b32 s1, exec_lo, s0
	s_cbranch_execz .LBB35_7
; %bb.6:
	s_cvt_f32_u32 s0, s10
	s_cvt_f32_u32 s6, s11
	s_sub_nc_u64 s[8:9], 0, s[10:11]
	s_mov_b32 s15, 0
	v_dual_mov_b32 v2, v0 :: v_dual_mov_b32 v3, v4
	s_fmamk_f32 s0, s6, 0x4f800000, s0
	v_dual_mov_b32 v6, v1 :: v_dual_mov_b32 v7, v4
	v_dual_mov_b32 v13, v4 :: v_dual_mov_b32 v5, v4
	s_delay_alu instid0(SALU_CYCLE_1) | instskip(NEXT) | instid1(TRANS32_DEP_1)
	v_s_rcp_f32 s0, s0
	s_mul_f32 s0, s0, 0x5f7ffffc
	s_delay_alu instid0(SALU_CYCLE_3) | instskip(NEXT) | instid1(SALU_CYCLE_3)
	s_mul_f32 s6, s0, 0x2f800000
	s_trunc_f32 s6, s6
	s_delay_alu instid0(SALU_CYCLE_3) | instskip(SKIP_1) | instid1(SALU_CYCLE_2)
	s_fmamk_f32 s0, s6, 0xcf800000, s0
	s_cvt_u32_f32 s7, s6
	s_cvt_u32_f32 s6, s0
	s_delay_alu instid0(SALU_CYCLE_3) | instskip(NEXT) | instid1(SALU_CYCLE_1)
	s_mul_u64 s[12:13], s[8:9], s[6:7]
	s_mul_hi_u32 s17, s6, s13
	s_mul_i32 s16, s6, s13
	s_mul_hi_u32 s14, s6, s12
	s_mul_i32 s18, s7, s12
	s_add_nc_u64 s[16:17], s[14:15], s[16:17]
	s_mul_hi_u32 s0, s7, s12
	s_mul_hi_u32 s19, s7, s13
	s_mul_i32 s12, s7, s13
	s_add_co_u32 s13, s16, s18
	s_add_co_ci_u32 s14, s17, s0
	s_add_co_ci_u32 s13, s19, 0
	s_delay_alu instid0(SALU_CYCLE_1) | instskip(NEXT) | instid1(SALU_CYCLE_1)
	s_add_nc_u64 s[12:13], s[14:15], s[12:13]
	s_add_co_u32 s6, s6, s12
	s_cselect_b32 s0, -1, 0
	s_delay_alu instid0(SALU_CYCLE_1) | instskip(SKIP_1) | instid1(SALU_CYCLE_1)
	s_cmp_lg_u32 s0, 0
	s_add_co_ci_u32 s7, s7, s13
	s_mul_u64 s[8:9], s[8:9], s[6:7]
	s_delay_alu instid0(SALU_CYCLE_1)
	s_mul_hi_u32 s13, s6, s9
	s_mul_i32 s12, s6, s9
	s_mul_hi_u32 s14, s6, s8
	s_mul_i32 s16, s7, s8
	s_add_nc_u64 s[12:13], s[14:15], s[12:13]
	s_mul_hi_u32 s0, s7, s8
	s_mul_hi_u32 s17, s7, s9
	s_mul_i32 s8, s7, s9
	s_add_co_u32 s9, s12, s16
	s_add_co_ci_u32 s14, s13, s0
	s_add_co_ci_u32 s9, s17, 0
	s_delay_alu instid0(SALU_CYCLE_1) | instskip(NEXT) | instid1(SALU_CYCLE_1)
	s_add_nc_u64 s[8:9], s[14:15], s[8:9]
	s_add_co_u32 s0, s6, s8
	s_cselect_b32 s6, -1, 0
	v_nop
	v_mul_hi_u32 v12, v0, s0
	s_cmp_lg_u32 s6, 0
	s_add_co_ci_u32 s14, s7, s9
	s_mov_b64 s[6:7], 0xffffffff
	v_mul_u64_e32 v[2:3], s[14:15], v[2:3]
	s_and_b64 s[6:7], s[0:1], s[6:7]
	s_delay_alu instid0(SALU_CYCLE_1) | instskip(SKIP_1) | instid1(VALU_DEP_3)
	v_mul_u64_e32 v[10:11], s[6:7], v[6:7]
	v_mul_u64_e32 v[6:7], s[14:15], v[6:7]
	v_add_nc_u64_e32 v[2:3], v[12:13], v[2:3]
	s_delay_alu instid0(VALU_DEP_1) | instskip(NEXT) | instid1(VALU_DEP_2)
	v_add_co_u32 v2, vcc_lo, v2, v10
	v_add_co_ci_u32_e32 v4, vcc_lo, v3, v11, vcc_lo
	s_delay_alu instid0(VALU_DEP_4) | instskip(NEXT) | instid1(VALU_DEP_1)
	v_add_co_ci_u32_e32 v7, vcc_lo, 0, v7, vcc_lo
	v_add_nc_u64_e32 v[2:3], v[4:5], v[6:7]
	s_delay_alu instid0(VALU_DEP_1) | instskip(NEXT) | instid1(VALU_DEP_1)
	v_mul_u64_e32 v[2:3], s[10:11], v[2:3]
	v_sub_nc_u32_e32 v4, v1, v3
	s_delay_alu instid0(VALU_DEP_2) | instskip(NEXT) | instid1(VALU_DEP_1)
	v_sub_co_u32 v2, vcc_lo, v0, v2
	v_sub_co_ci_u32_e64 v3, null, v1, v3, vcc_lo
	s_delay_alu instid0(VALU_DEP_3) | instskip(NEXT) | instid1(VALU_DEP_3)
	v_subrev_co_ci_u32_e64 v4, null, s11, v4, vcc_lo
	v_sub_co_u32 v5, vcc_lo, v2, s10
	v_cmp_le_u32_e64 s0, s10, v2
	s_delay_alu instid0(VALU_DEP_3) | instskip(SKIP_1) | instid1(VALU_DEP_3)
	v_subrev_co_ci_u32_e64 v6, null, 0, v4, vcc_lo
	v_subrev_co_ci_u32_e64 v4, null, s11, v4, vcc_lo
	v_cndmask_b32_e64 v7, 0, -1, s0
	v_cmp_le_u32_e64 s0, s10, v5
	v_cmp_le_u32_e32 vcc_lo, s11, v3
	s_delay_alu instid0(VALU_DEP_2) | instskip(SKIP_3) | instid1(VALU_DEP_3)
	v_cndmask_b32_e64 v9, 0, -1, s0
	v_cmp_le_u32_e64 s0, s11, v6
	v_cndmask_b32_e64 v11, 0, -1, vcc_lo
	v_cmp_eq_u32_e32 vcc_lo, s11, v6
	v_cndmask_b32_e64 v10, 0, -1, s0
	v_cmp_eq_u32_e64 s0, s11, v3
	s_delay_alu instid0(VALU_DEP_2) | instskip(SKIP_1) | instid1(VALU_DEP_1)
	v_cndmask_b32_e32 v9, v10, v9, vcc_lo
	v_sub_co_u32 v10, vcc_lo, v5, s10
	v_subrev_co_ci_u32_e64 v4, null, 0, v4, vcc_lo
	s_delay_alu instid0(VALU_DEP_3) | instskip(NEXT) | instid1(VALU_DEP_2)
	v_cmp_ne_u32_e32 vcc_lo, 0, v9
	v_dual_cndmask_b32 v7, v11, v7, s0 :: v_dual_cndmask_b32 v4, v6, v4, vcc_lo
	s_delay_alu instid0(VALU_DEP_4) | instskip(NEXT) | instid1(VALU_DEP_2)
	v_cndmask_b32_e32 v5, v5, v10, vcc_lo
	v_cmp_ne_u32_e32 vcc_lo, 0, v7
	s_delay_alu instid0(VALU_DEP_2)
	v_dual_cndmask_b32 v3, v3, v4 :: v_dual_cndmask_b32 v2, v2, v5
.LBB35_7:
	s_and_not1_saveexec_b32 s0, s1
	s_cbranch_execz .LBB35_9
; %bb.8:
	v_cvt_f32_u32_e32 v2, s10
	s_sub_co_i32 s1, 0, s10
	s_delay_alu instid0(VALU_DEP_1) | instskip(SKIP_1) | instid1(TRANS32_DEP_1)
	v_rcp_iflag_f32_e32 v2, v2
	v_nop
	v_mul_f32_e32 v2, 0x4f7ffffe, v2
	s_delay_alu instid0(VALU_DEP_1) | instskip(NEXT) | instid1(VALU_DEP_1)
	v_cvt_u32_f32_e32 v2, v2
	v_mul_lo_u32 v3, s1, v2
	s_delay_alu instid0(VALU_DEP_1) | instskip(NEXT) | instid1(VALU_DEP_1)
	v_mul_hi_u32 v3, v2, v3
	v_add_nc_u32_e32 v2, v2, v3
	s_delay_alu instid0(VALU_DEP_1) | instskip(NEXT) | instid1(VALU_DEP_1)
	v_mul_hi_u32 v2, v0, v2
	v_mul_lo_u32 v2, v2, s10
	s_delay_alu instid0(VALU_DEP_1) | instskip(NEXT) | instid1(VALU_DEP_1)
	v_sub_nc_u32_e32 v2, v0, v2
	v_subrev_nc_u32_e32 v3, s10, v2
	v_cmp_le_u32_e32 vcc_lo, s10, v2
	s_delay_alu instid0(VALU_DEP_2) | instskip(NEXT) | instid1(VALU_DEP_1)
	v_cndmask_b32_e32 v2, v2, v3, vcc_lo
	v_subrev_nc_u32_e32 v3, s10, v2
	v_cmp_le_u32_e32 vcc_lo, s10, v2
	s_delay_alu instid0(VALU_DEP_2)
	v_dual_cndmask_b32 v2, v2, v3 :: v_dual_mov_b32 v3, 0
.LBB35_9:
	s_or_b32 exec_lo, exec_lo, s0
	s_wait_kmcnt 0x0
	s_delay_alu instid0(VALU_DEP_1) | instskip(SKIP_1) | instid1(VALU_DEP_1)
	v_dual_mov_b32 v4, 0 :: v_dual_bitop2_b32 v5, s3, v3 bitop3:0x54
                                        ; implicit-def: $vgpr6_vgpr7
	s_mov_b32 s0, exec_lo
	v_cmpx_ne_u64_e32 0, v[4:5]
	s_xor_b32 s1, exec_lo, s0
	s_cbranch_execz .LBB35_11
; %bb.10:
	s_cvt_f32_u32 s0, s2
	s_cvt_f32_u32 s6, s3
	s_sub_nc_u64 s[8:9], 0, s[2:3]
	s_mov_b32 s13, 0
	v_dual_mov_b32 v6, v2 :: v_dual_mov_b32 v7, v4
	s_fmamk_f32 s0, s6, 0x4f800000, s0
	v_dual_mov_b32 v10, v3 :: v_dual_mov_b32 v11, v4
	v_dual_mov_b32 v15, v4 :: v_dual_mov_b32 v5, v4
	s_delay_alu instid0(SALU_CYCLE_1) | instskip(NEXT) | instid1(TRANS32_DEP_1)
	v_s_rcp_f32 s0, s0
	s_mul_f32 s0, s0, 0x5f7ffffc
	s_delay_alu instid0(SALU_CYCLE_3) | instskip(NEXT) | instid1(SALU_CYCLE_3)
	s_mul_f32 s6, s0, 0x2f800000
	s_trunc_f32 s6, s6
	s_delay_alu instid0(SALU_CYCLE_3) | instskip(SKIP_1) | instid1(SALU_CYCLE_2)
	s_fmamk_f32 s0, s6, 0xcf800000, s0
	s_cvt_u32_f32 s7, s6
	s_cvt_u32_f32 s6, s0
	s_delay_alu instid0(SALU_CYCLE_3) | instskip(NEXT) | instid1(SALU_CYCLE_1)
	s_mul_u64 s[10:11], s[8:9], s[6:7]
	s_mul_hi_u32 s15, s6, s11
	s_mul_i32 s14, s6, s11
	s_mul_hi_u32 s12, s6, s10
	s_mul_i32 s16, s7, s10
	s_add_nc_u64 s[14:15], s[12:13], s[14:15]
	s_mul_hi_u32 s0, s7, s10
	s_mul_hi_u32 s17, s7, s11
	s_mul_i32 s10, s7, s11
	s_add_co_u32 s11, s14, s16
	s_add_co_ci_u32 s12, s15, s0
	s_add_co_ci_u32 s11, s17, 0
	s_delay_alu instid0(SALU_CYCLE_1) | instskip(NEXT) | instid1(SALU_CYCLE_1)
	s_add_nc_u64 s[10:11], s[12:13], s[10:11]
	s_add_co_u32 s6, s6, s10
	s_cselect_b32 s0, -1, 0
	s_delay_alu instid0(SALU_CYCLE_1) | instskip(SKIP_1) | instid1(SALU_CYCLE_1)
	s_cmp_lg_u32 s0, 0
	s_add_co_ci_u32 s7, s7, s11
	s_mul_u64 s[8:9], s[8:9], s[6:7]
	s_delay_alu instid0(SALU_CYCLE_1)
	s_mul_hi_u32 s11, s6, s9
	s_mul_i32 s10, s6, s9
	s_mul_hi_u32 s12, s6, s8
	s_mul_i32 s14, s7, s8
	s_add_nc_u64 s[10:11], s[12:13], s[10:11]
	s_mul_hi_u32 s0, s7, s8
	s_mul_hi_u32 s15, s7, s9
	s_mul_i32 s8, s7, s9
	s_add_co_u32 s9, s10, s14
	s_add_co_ci_u32 s12, s11, s0
	s_add_co_ci_u32 s9, s15, 0
	s_delay_alu instid0(SALU_CYCLE_1) | instskip(NEXT) | instid1(SALU_CYCLE_1)
	s_add_nc_u64 s[8:9], s[12:13], s[8:9]
	s_add_co_u32 s0, s6, s8
	s_cselect_b32 s6, -1, 0
	v_nop
	v_mul_hi_u32 v14, v2, s0
	s_cmp_lg_u32 s6, 0
	s_add_co_ci_u32 s12, s7, s9
	s_mov_b64 s[6:7], 0xffffffff
	v_mul_u64_e32 v[6:7], s[12:13], v[6:7]
	s_and_b64 s[6:7], s[0:1], s[6:7]
	s_delay_alu instid0(SALU_CYCLE_1) | instskip(SKIP_1) | instid1(VALU_DEP_3)
	v_mul_u64_e32 v[12:13], s[6:7], v[10:11]
	v_mul_u64_e32 v[10:11], s[12:13], v[10:11]
	v_add_nc_u64_e32 v[6:7], v[14:15], v[6:7]
	s_delay_alu instid0(VALU_DEP_1) | instskip(NEXT) | instid1(VALU_DEP_2)
	v_add_co_u32 v4, vcc_lo, v6, v12
	v_add_co_ci_u32_e32 v4, vcc_lo, v7, v13, vcc_lo
	s_delay_alu instid0(VALU_DEP_4) | instskip(NEXT) | instid1(VALU_DEP_1)
	v_add_co_ci_u32_e32 v11, vcc_lo, 0, v11, vcc_lo
	v_add_nc_u64_e32 v[4:5], v[4:5], v[10:11]
	s_delay_alu instid0(VALU_DEP_1) | instskip(SKIP_2) | instid1(VALU_DEP_3)
	v_mul_u64_e32 v[6:7], s[2:3], v[4:5]
	v_add_nc_u64_e32 v[10:11], 2, v[4:5]
	v_add_nc_u64_e32 v[12:13], 1, v[4:5]
	v_sub_nc_u32_e32 v9, v3, v7
	s_delay_alu instid0(VALU_DEP_4) | instskip(NEXT) | instid1(VALU_DEP_1)
	v_sub_co_u32 v6, vcc_lo, v2, v6
	v_sub_co_ci_u32_e64 v3, null, v3, v7, vcc_lo
	s_delay_alu instid0(VALU_DEP_3) | instskip(NEXT) | instid1(VALU_DEP_3)
	v_subrev_co_ci_u32_e64 v9, null, s3, v9, vcc_lo
	v_sub_co_u32 v5, s0, v6, s2
	s_delay_alu instid0(VALU_DEP_1) | instskip(NEXT) | instid1(VALU_DEP_2)
	v_subrev_co_ci_u32_e64 v9, null, 0, v9, s0
	v_cmp_le_u32_e32 vcc_lo, s2, v5
	v_cndmask_b32_e64 v5, 0, -1, vcc_lo
	s_delay_alu instid0(VALU_DEP_3)
	v_cmp_le_u32_e32 vcc_lo, s3, v9
	v_cndmask_b32_e64 v7, 0, -1, vcc_lo
	v_cmp_le_u32_e32 vcc_lo, s2, v6
	v_cndmask_b32_e64 v6, 0, -1, vcc_lo
	;; [unrolled: 2-line block ×3, first 2 shown]
	v_cmp_eq_u32_e32 vcc_lo, s3, v9
	v_cndmask_b32_e32 v5, v7, v5, vcc_lo
	v_cmp_eq_u32_e32 vcc_lo, s3, v3
	s_delay_alu instid0(VALU_DEP_4) | instskip(NEXT) | instid1(VALU_DEP_3)
	v_cndmask_b32_e32 v3, v11, v6, vcc_lo
	v_cmp_ne_u32_e32 vcc_lo, 0, v5
	v_cndmask_b32_e32 v5, v12, v10, vcc_lo
	s_delay_alu instid0(VALU_DEP_3) | instskip(NEXT) | instid1(VALU_DEP_2)
	v_cmp_ne_u32_e32 vcc_lo, 0, v3
	v_cndmask_b32_e32 v6, v4, v5, vcc_lo
.LBB35_11:
	s_and_not1_saveexec_b32 s0, s1
	s_cbranch_execz .LBB35_13
; %bb.12:
	v_cvt_f32_u32_e32 v3, s2
	s_sub_co_i32 s1, 0, s2
	s_delay_alu instid0(VALU_DEP_1) | instskip(SKIP_1) | instid1(TRANS32_DEP_1)
	v_rcp_iflag_f32_e32 v3, v3
	v_nop
	v_mul_f32_e32 v3, 0x4f7ffffe, v3
	s_delay_alu instid0(VALU_DEP_1) | instskip(NEXT) | instid1(VALU_DEP_1)
	v_cvt_u32_f32_e32 v3, v3
	v_mul_lo_u32 v4, s1, v3
	s_delay_alu instid0(VALU_DEP_1) | instskip(NEXT) | instid1(VALU_DEP_1)
	v_mul_hi_u32 v4, v3, v4
	v_add_nc_u32_e32 v3, v3, v4
	s_delay_alu instid0(VALU_DEP_1) | instskip(NEXT) | instid1(VALU_DEP_1)
	v_mul_hi_u32 v3, v2, v3
	v_mul_lo_u32 v4, v3, s2
	s_delay_alu instid0(VALU_DEP_1) | instskip(NEXT) | instid1(VALU_DEP_1)
	v_dual_add_nc_u32 v5, 1, v3 :: v_dual_sub_nc_u32 v4, v2, v4
	v_subrev_nc_u32_e32 v6, s2, v4
	v_cmp_le_u32_e32 vcc_lo, s2, v4
	s_delay_alu instid0(VALU_DEP_2) | instskip(NEXT) | instid1(VALU_DEP_1)
	v_dual_cndmask_b32 v4, v4, v6 :: v_dual_cndmask_b32 v3, v3, v5
	v_cmp_le_u32_e32 vcc_lo, s2, v4
	s_delay_alu instid0(VALU_DEP_2) | instskip(NEXT) | instid1(VALU_DEP_1)
	v_add_nc_u32_e32 v5, 1, v3
	v_cndmask_b32_e32 v6, v3, v5, vcc_lo
.LBB35_13:
	s_or_b32 exec_lo, exec_lo, s0
	s_delay_alu instid0(VALU_DEP_1) | instskip(SKIP_1) | instid1(VALU_DEP_2)
	v_mul_lo_u32 v3, v6, s2
	v_lshl_add_u64 v[0:1], v[0:1], 1, s[4:5]
	v_dual_sub_nc_u32 v2, v2, v3 :: v_dual_lshrrev_b32 v3, 16, v8
	s_delay_alu instid0(VALU_DEP_1) | instskip(NEXT) | instid1(VALU_DEP_2)
	v_bitop3_b32 v2, v2, 1, v6 bitop3:0x48
	v_xor_b32_e32 v4, 0xffff8000, v3
	s_delay_alu instid0(VALU_DEP_2) | instskip(NEXT) | instid1(VALU_DEP_2)
	v_cmp_eq_u32_e32 vcc_lo, 0, v2
	v_cndmask_b32_e32 v2, v3, v4, vcc_lo
	global_store_b16 v[0:1], v2, off
.LBB35_14:
	s_endpgm
	.section	.rodata,"a",@progbits
	.p2align	6, 0x0
	.amdhsa_kernel _Z11fill_kernelI12hip_bfloat16Z21hipblaslt_init_deviceIS0_Ev8ABC_dims24hipblaslt_initializationbPT_mmmmmEUlmE1_EvS5_mmT0_
		.amdhsa_group_segment_fixed_size 0
		.amdhsa_private_segment_fixed_size 0
		.amdhsa_kernarg_size 296
		.amdhsa_user_sgpr_count 2
		.amdhsa_user_sgpr_dispatch_ptr 0
		.amdhsa_user_sgpr_queue_ptr 0
		.amdhsa_user_sgpr_kernarg_segment_ptr 1
		.amdhsa_user_sgpr_dispatch_id 0
		.amdhsa_user_sgpr_kernarg_preload_length 0
		.amdhsa_user_sgpr_kernarg_preload_offset 0
		.amdhsa_user_sgpr_private_segment_size 0
		.amdhsa_wavefront_size32 1
		.amdhsa_uses_dynamic_stack 0
		.amdhsa_enable_private_segment 0
		.amdhsa_system_sgpr_workgroup_id_x 1
		.amdhsa_system_sgpr_workgroup_id_y 0
		.amdhsa_system_sgpr_workgroup_id_z 0
		.amdhsa_system_sgpr_workgroup_info 0
		.amdhsa_system_vgpr_workitem_id 0
		.amdhsa_next_free_vgpr 16
		.amdhsa_next_free_sgpr 20
		.amdhsa_named_barrier_count 0
		.amdhsa_reserve_vcc 1
		.amdhsa_float_round_mode_32 0
		.amdhsa_float_round_mode_16_64 0
		.amdhsa_float_denorm_mode_32 3
		.amdhsa_float_denorm_mode_16_64 3
		.amdhsa_fp16_overflow 0
		.amdhsa_memory_ordered 1
		.amdhsa_forward_progress 1
		.amdhsa_inst_pref_size 16
		.amdhsa_round_robin_scheduling 0
		.amdhsa_exception_fp_ieee_invalid_op 0
		.amdhsa_exception_fp_denorm_src 0
		.amdhsa_exception_fp_ieee_div_zero 0
		.amdhsa_exception_fp_ieee_overflow 0
		.amdhsa_exception_fp_ieee_underflow 0
		.amdhsa_exception_fp_ieee_inexact 0
		.amdhsa_exception_int_div_zero 0
	.end_amdhsa_kernel
	.section	.text._Z11fill_kernelI12hip_bfloat16Z21hipblaslt_init_deviceIS0_Ev8ABC_dims24hipblaslt_initializationbPT_mmmmmEUlmE1_EvS5_mmT0_,"axG",@progbits,_Z11fill_kernelI12hip_bfloat16Z21hipblaslt_init_deviceIS0_Ev8ABC_dims24hipblaslt_initializationbPT_mmmmmEUlmE1_EvS5_mmT0_,comdat
.Lfunc_end35:
	.size	_Z11fill_kernelI12hip_bfloat16Z21hipblaslt_init_deviceIS0_Ev8ABC_dims24hipblaslt_initializationbPT_mmmmmEUlmE1_EvS5_mmT0_, .Lfunc_end35-_Z11fill_kernelI12hip_bfloat16Z21hipblaslt_init_deviceIS0_Ev8ABC_dims24hipblaslt_initializationbPT_mmmmmEUlmE1_EvS5_mmT0_
                                        ; -- End function
	.set _Z11fill_kernelI12hip_bfloat16Z21hipblaslt_init_deviceIS0_Ev8ABC_dims24hipblaslt_initializationbPT_mmmmmEUlmE1_EvS5_mmT0_.num_vgpr, 16
	.set _Z11fill_kernelI12hip_bfloat16Z21hipblaslt_init_deviceIS0_Ev8ABC_dims24hipblaslt_initializationbPT_mmmmmEUlmE1_EvS5_mmT0_.num_agpr, 0
	.set _Z11fill_kernelI12hip_bfloat16Z21hipblaslt_init_deviceIS0_Ev8ABC_dims24hipblaslt_initializationbPT_mmmmmEUlmE1_EvS5_mmT0_.numbered_sgpr, 20
	.set _Z11fill_kernelI12hip_bfloat16Z21hipblaslt_init_deviceIS0_Ev8ABC_dims24hipblaslt_initializationbPT_mmmmmEUlmE1_EvS5_mmT0_.num_named_barrier, 0
	.set _Z11fill_kernelI12hip_bfloat16Z21hipblaslt_init_deviceIS0_Ev8ABC_dims24hipblaslt_initializationbPT_mmmmmEUlmE1_EvS5_mmT0_.private_seg_size, 0
	.set _Z11fill_kernelI12hip_bfloat16Z21hipblaslt_init_deviceIS0_Ev8ABC_dims24hipblaslt_initializationbPT_mmmmmEUlmE1_EvS5_mmT0_.uses_vcc, 1
	.set _Z11fill_kernelI12hip_bfloat16Z21hipblaslt_init_deviceIS0_Ev8ABC_dims24hipblaslt_initializationbPT_mmmmmEUlmE1_EvS5_mmT0_.uses_flat_scratch, 0
	.set _Z11fill_kernelI12hip_bfloat16Z21hipblaslt_init_deviceIS0_Ev8ABC_dims24hipblaslt_initializationbPT_mmmmmEUlmE1_EvS5_mmT0_.has_dyn_sized_stack, 0
	.set _Z11fill_kernelI12hip_bfloat16Z21hipblaslt_init_deviceIS0_Ev8ABC_dims24hipblaslt_initializationbPT_mmmmmEUlmE1_EvS5_mmT0_.has_recursion, 0
	.set _Z11fill_kernelI12hip_bfloat16Z21hipblaslt_init_deviceIS0_Ev8ABC_dims24hipblaslt_initializationbPT_mmmmmEUlmE1_EvS5_mmT0_.has_indirect_call, 0
	.section	.AMDGPU.csdata,"",@progbits
; Kernel info:
; codeLenInByte = 1928
; TotalNumSgprs: 22
; NumVgprs: 16
; ScratchSize: 0
; MemoryBound: 0
; FloatMode: 240
; IeeeMode: 1
; LDSByteSize: 0 bytes/workgroup (compile time only)
; SGPRBlocks: 0
; VGPRBlocks: 0
; NumSGPRsForWavesPerEU: 22
; NumVGPRsForWavesPerEU: 16
; NamedBarCnt: 0
; Occupancy: 16
; WaveLimiterHint : 0
; COMPUTE_PGM_RSRC2:SCRATCH_EN: 0
; COMPUTE_PGM_RSRC2:USER_SGPR: 2
; COMPUTE_PGM_RSRC2:TRAP_HANDLER: 0
; COMPUTE_PGM_RSRC2:TGID_X_EN: 1
; COMPUTE_PGM_RSRC2:TGID_Y_EN: 0
; COMPUTE_PGM_RSRC2:TGID_Z_EN: 0
; COMPUTE_PGM_RSRC2:TIDIG_COMP_CNT: 0
	.section	.text._Z11fill_kernelI12hip_bfloat16Z21hipblaslt_init_deviceIS0_Ev8ABC_dims24hipblaslt_initializationbPT_mmmmmEUlmE2_EvS5_mmT0_,"axG",@progbits,_Z11fill_kernelI12hip_bfloat16Z21hipblaslt_init_deviceIS0_Ev8ABC_dims24hipblaslt_initializationbPT_mmmmmEUlmE2_EvS5_mmT0_,comdat
	.protected	_Z11fill_kernelI12hip_bfloat16Z21hipblaslt_init_deviceIS0_Ev8ABC_dims24hipblaslt_initializationbPT_mmmmmEUlmE2_EvS5_mmT0_ ; -- Begin function _Z11fill_kernelI12hip_bfloat16Z21hipblaslt_init_deviceIS0_Ev8ABC_dims24hipblaslt_initializationbPT_mmmmmEUlmE2_EvS5_mmT0_
	.globl	_Z11fill_kernelI12hip_bfloat16Z21hipblaslt_init_deviceIS0_Ev8ABC_dims24hipblaslt_initializationbPT_mmmmmEUlmE2_EvS5_mmT0_
	.p2align	8
	.type	_Z11fill_kernelI12hip_bfloat16Z21hipblaslt_init_deviceIS0_Ev8ABC_dims24hipblaslt_initializationbPT_mmmmmEUlmE2_EvS5_mmT0_,@function
_Z11fill_kernelI12hip_bfloat16Z21hipblaslt_init_deviceIS0_Ev8ABC_dims24hipblaslt_initializationbPT_mmmmmEUlmE2_EvS5_mmT0_: ; @_Z11fill_kernelI12hip_bfloat16Z21hipblaslt_init_deviceIS0_Ev8ABC_dims24hipblaslt_initializationbPT_mmmmmEUlmE2_EvS5_mmT0_
; %bb.0:
	s_clause 0x1
	s_load_b32 s2, s[0:1], 0x44
	s_load_b128 s[12:15], s[0:1], 0x0
	s_bfe_u32 s3, ttmp6, 0x4000c
	s_and_b32 s4, ttmp6, 15
	s_add_co_i32 s3, s3, 1
	s_getreg_b32 s5, hwreg(HW_REG_IB_STS2, 6, 4)
	s_mul_i32 s3, ttmp9, s3
	v_mov_b32_e32 v3, 0
	s_add_co_i32 s4, s4, s3
	s_wait_kmcnt 0x0
	s_and_b32 s2, s2, 0xffff
	s_cmp_eq_u32 s5, 0
	s_cselect_b32 s3, ttmp9, s4
	s_delay_alu instid0(SALU_CYCLE_1) | instskip(SKIP_1) | instid1(VALU_DEP_1)
	v_mad_u32 v2, s3, s2, v0
	s_mov_b32 s2, exec_lo
	v_cmpx_gt_u64_e64 s[14:15], v[2:3]
	s_cbranch_execz .LBB36_18
; %bb.1:
	s_clause 0x1
	s_load_b64 s[2:3], s[0:1], 0x10
	s_load_b256 s[4:11], s[0:1], 0x18
	s_wait_xcnt 0x0
	s_mov_b32 s0, exec_lo
	v_mov_b32_e32 v4, v3
	s_wait_kmcnt 0x0
	v_add_nc_u64_e32 v[0:1], s[2:3], v[2:3]
                                        ; implicit-def: $vgpr2_vgpr3
	s_delay_alu instid0(VALU_DEP_1) | instskip(NEXT) | instid1(VALU_DEP_1)
	v_or_b32_e32 v5, s9, v1
	v_cmpx_ne_u64_e32 0, v[4:5]
	s_xor_b32 s1, exec_lo, s0
	s_cbranch_execz .LBB36_3
; %bb.2:
	s_cvt_f32_u32 s0, s8
	s_cvt_f32_u32 s2, s9
	s_sub_nc_u64 s[14:15], 0, s[8:9]
	s_mov_b32 s19, 0
	v_dual_mov_b32 v3, 0 :: v_dual_mov_b32 v2, v0
	s_fmamk_f32 s0, s2, 0x4f800000, s0
	s_delay_alu instid0(SALU_CYCLE_3) | instskip(NEXT) | instid1(TRANS32_DEP_1)
	v_s_rcp_f32 s0, s0
	s_mul_f32 s0, s0, 0x5f7ffffc
	s_delay_alu instid0(SALU_CYCLE_3) | instskip(NEXT) | instid1(SALU_CYCLE_3)
	s_mul_f32 s2, s0, 0x2f800000
	s_trunc_f32 s2, s2
	s_delay_alu instid0(SALU_CYCLE_3) | instskip(SKIP_1) | instid1(SALU_CYCLE_2)
	s_fmamk_f32 s0, s2, 0xcf800000, s0
	s_cvt_u32_f32 s3, s2
	s_cvt_u32_f32 s2, s0
	s_delay_alu instid0(SALU_CYCLE_3) | instskip(NEXT) | instid1(SALU_CYCLE_1)
	s_mul_u64 s[16:17], s[14:15], s[2:3]
	s_mul_hi_u32 s21, s2, s17
	s_mul_i32 s20, s2, s17
	s_mul_hi_u32 s18, s2, s16
	s_mul_i32 s22, s3, s16
	s_add_nc_u64 s[20:21], s[18:19], s[20:21]
	s_mul_hi_u32 s0, s3, s16
	s_mul_hi_u32 s23, s3, s17
	s_mul_i32 s16, s3, s17
	s_add_co_u32 s17, s20, s22
	s_add_co_ci_u32 s18, s21, s0
	s_add_co_ci_u32 s17, s23, 0
	s_delay_alu instid0(SALU_CYCLE_1) | instskip(NEXT) | instid1(SALU_CYCLE_1)
	s_add_nc_u64 s[16:17], s[18:19], s[16:17]
	s_add_co_u32 s2, s2, s16
	s_cselect_b32 s0, -1, 0
	s_delay_alu instid0(SALU_CYCLE_1) | instskip(SKIP_1) | instid1(SALU_CYCLE_1)
	s_cmp_lg_u32 s0, 0
	s_add_co_ci_u32 s3, s3, s17
	s_mul_u64 s[14:15], s[14:15], s[2:3]
	s_delay_alu instid0(SALU_CYCLE_1)
	s_mul_hi_u32 s17, s2, s15
	s_mul_i32 s16, s2, s15
	s_mul_hi_u32 s18, s2, s14
	s_mul_i32 s20, s3, s14
	s_add_nc_u64 s[16:17], s[18:19], s[16:17]
	s_mul_hi_u32 s0, s3, s14
	s_mul_hi_u32 s21, s3, s15
	s_mul_i32 s14, s3, s15
	s_add_co_u32 s15, s16, s20
	s_add_co_ci_u32 s18, s17, s0
	s_add_co_ci_u32 s15, s21, 0
	s_delay_alu instid0(SALU_CYCLE_1) | instskip(NEXT) | instid1(SALU_CYCLE_1)
	s_add_nc_u64 s[14:15], s[18:19], s[14:15]
	s_add_co_u32 s0, s2, s14
	s_cselect_b32 s2, -1, 0
	s_delay_alu instid0(SALU_CYCLE_1)
	s_cmp_lg_u32 s2, 0
	s_add_co_ci_u32 s18, s3, s15
	s_mov_b64 s[2:3], 0xffffffff
	v_mul_u64_e32 v[4:5], s[18:19], v[2:3]
	v_mul_hi_u32 v2, v0, s0
	s_and_b64 s[2:3], s[0:1], s[2:3]
	s_delay_alu instid0(VALU_DEP_1) | instskip(SKIP_1) | instid1(VALU_DEP_1)
	v_add_nc_u64_e32 v[4:5], v[2:3], v[4:5]
	v_mov_b32_e32 v2, v1
	v_mul_u64_e32 v[6:7], s[2:3], v[2:3]
	v_mul_u64_e32 v[8:9], s[18:19], v[2:3]
	s_delay_alu instid0(VALU_DEP_2) | instskip(NEXT) | instid1(VALU_DEP_3)
	v_add_co_u32 v2, vcc_lo, v4, v6
	v_add_co_ci_u32_e32 v2, vcc_lo, v5, v7, vcc_lo
	s_delay_alu instid0(VALU_DEP_3) | instskip(NEXT) | instid1(VALU_DEP_1)
	v_add_co_ci_u32_e32 v9, vcc_lo, 0, v9, vcc_lo
	v_add_nc_u64_e32 v[2:3], v[2:3], v[8:9]
	s_delay_alu instid0(VALU_DEP_1) | instskip(NEXT) | instid1(VALU_DEP_1)
	v_mul_u64_e32 v[4:5], s[8:9], v[2:3]
	v_sub_nc_u32_e32 v6, v1, v5
	s_delay_alu instid0(VALU_DEP_2) | instskip(NEXT) | instid1(VALU_DEP_1)
	v_sub_co_u32 v4, vcc_lo, v0, v4
	v_sub_co_ci_u32_e64 v11, null, v1, v5, vcc_lo
	s_delay_alu instid0(VALU_DEP_3) | instskip(NEXT) | instid1(VALU_DEP_3)
	v_subrev_co_ci_u32_e64 v6, null, s9, v6, vcc_lo
	v_sub_co_u32 v8, s0, v4, s8
	v_cmp_le_u32_e32 vcc_lo, s8, v4
	s_delay_alu instid0(VALU_DEP_3) | instskip(NEXT) | instid1(VALU_DEP_3)
	v_subrev_co_ci_u32_e64 v9, null, 0, v6, s0
	v_cmp_le_u32_e64 s0, s8, v8
	v_add_nc_u64_e32 v[6:7], 2, v[2:3]
	v_cndmask_b32_e64 v12, 0, -1, vcc_lo
	s_delay_alu instid0(VALU_DEP_4) | instskip(SKIP_3) | instid1(VALU_DEP_1)
	v_cmp_eq_u32_e32 vcc_lo, s9, v9
	v_add_nc_u64_e32 v[4:5], 1, v[2:3]
	v_cndmask_b32_e64 v8, 0, -1, s0
	v_cmp_le_u32_e64 s0, s9, v9
	v_cndmask_b32_e64 v10, 0, -1, s0
	v_cmp_eq_u32_e64 s0, s9, v11
	s_delay_alu instid0(VALU_DEP_2) | instskip(SKIP_2) | instid1(VALU_DEP_3)
	v_cndmask_b32_e32 v8, v10, v8, vcc_lo
	v_cmp_le_u32_e32 vcc_lo, s9, v11
	v_cndmask_b32_e64 v9, 0, -1, vcc_lo
	v_cmp_ne_u32_e32 vcc_lo, 0, v8
	s_delay_alu instid0(VALU_DEP_2) | instskip(SKIP_1) | instid1(VALU_DEP_2)
	v_dual_cndmask_b32 v8, v9, v12, s0 :: v_dual_cndmask_b32 v4, v4, v6, vcc_lo
	v_cndmask_b32_e32 v5, v5, v7, vcc_lo
	v_cmp_ne_u32_e32 vcc_lo, 0, v8
	s_delay_alu instid0(VALU_DEP_2)
	v_dual_cndmask_b32 v3, v3, v5 :: v_dual_cndmask_b32 v2, v2, v4
.LBB36_3:
	s_and_not1_saveexec_b32 s0, s1
	s_cbranch_execz .LBB36_5
; %bb.4:
	v_cvt_f32_u32_e32 v2, s8
	s_sub_co_i32 s1, 0, s8
	s_delay_alu instid0(VALU_DEP_1) | instskip(SKIP_1) | instid1(TRANS32_DEP_1)
	v_rcp_iflag_f32_e32 v2, v2
	v_nop
	v_mul_f32_e32 v2, 0x4f7ffffe, v2
	s_delay_alu instid0(VALU_DEP_1) | instskip(NEXT) | instid1(VALU_DEP_1)
	v_cvt_u32_f32_e32 v2, v2
	v_mul_lo_u32 v3, s1, v2
	s_delay_alu instid0(VALU_DEP_1) | instskip(NEXT) | instid1(VALU_DEP_1)
	v_mul_hi_u32 v3, v2, v3
	v_add_nc_u32_e32 v2, v2, v3
	s_delay_alu instid0(VALU_DEP_1) | instskip(NEXT) | instid1(VALU_DEP_1)
	v_mul_hi_u32 v2, v0, v2
	v_mul_lo_u32 v3, v2, s8
	s_delay_alu instid0(VALU_DEP_1) | instskip(NEXT) | instid1(VALU_DEP_1)
	v_dual_add_nc_u32 v4, 1, v2 :: v_dual_sub_nc_u32 v3, v0, v3
	v_subrev_nc_u32_e32 v5, s8, v3
	v_cmp_le_u32_e32 vcc_lo, s8, v3
	s_delay_alu instid0(VALU_DEP_2) | instskip(NEXT) | instid1(VALU_DEP_1)
	v_dual_cndmask_b32 v3, v3, v5 :: v_dual_cndmask_b32 v2, v2, v4
	v_cmp_le_u32_e32 vcc_lo, s8, v3
	s_delay_alu instid0(VALU_DEP_2) | instskip(NEXT) | instid1(VALU_DEP_1)
	v_dual_mov_b32 v3, 0 :: v_dual_add_nc_u32 v4, 1, v2
	v_cndmask_b32_e32 v2, v2, v4, vcc_lo
.LBB36_5:
	s_or_b32 exec_lo, exec_lo, s0
	s_delay_alu instid0(VALU_DEP_1) | instskip(SKIP_2) | instid1(VALU_DEP_2)
	v_mul_u64_e32 v[4:5], s[8:9], v[2:3]
                                        ; implicit-def: $vgpr8_vgpr9
	s_mov_b32 s0, exec_lo
	v_mov_b32_e32 v6, 0
	v_sub_nc_u64_e32 v[4:5], v[0:1], v[4:5]
	s_delay_alu instid0(VALU_DEP_1) | instskip(NEXT) | instid1(VALU_DEP_1)
	v_or_b32_e32 v7, s11, v5
	v_cmpx_ne_u64_e32 0, v[6:7]
	s_xor_b32 s1, exec_lo, s0
	s_cbranch_execz .LBB36_7
; %bb.6:
	s_cvt_f32_u32 s0, s10
	s_cvt_f32_u32 s2, s11
	s_sub_nc_u64 s[8:9], 0, s[10:11]
	s_mov_b32 s17, 0
	v_dual_mov_b32 v8, v4 :: v_dual_mov_b32 v9, v6
	s_fmamk_f32 s0, s2, 0x4f800000, s0
	v_dual_mov_b32 v10, v5 :: v_dual_mov_b32 v11, v6
	v_dual_mov_b32 v15, v6 :: v_dual_mov_b32 v7, v6
	s_delay_alu instid0(SALU_CYCLE_1) | instskip(NEXT) | instid1(TRANS32_DEP_1)
	v_s_rcp_f32 s0, s0
	s_mul_f32 s0, s0, 0x5f7ffffc
	s_delay_alu instid0(SALU_CYCLE_3) | instskip(NEXT) | instid1(SALU_CYCLE_3)
	s_mul_f32 s2, s0, 0x2f800000
	s_trunc_f32 s2, s2
	s_delay_alu instid0(SALU_CYCLE_3) | instskip(SKIP_1) | instid1(SALU_CYCLE_2)
	s_fmamk_f32 s0, s2, 0xcf800000, s0
	s_cvt_u32_f32 s3, s2
	s_cvt_u32_f32 s2, s0
	s_delay_alu instid0(SALU_CYCLE_3) | instskip(NEXT) | instid1(SALU_CYCLE_1)
	s_mul_u64 s[14:15], s[8:9], s[2:3]
	s_mul_hi_u32 s19, s2, s15
	s_mul_i32 s18, s2, s15
	s_mul_hi_u32 s16, s2, s14
	s_mul_i32 s20, s3, s14
	s_add_nc_u64 s[18:19], s[16:17], s[18:19]
	s_mul_hi_u32 s0, s3, s14
	s_mul_hi_u32 s21, s3, s15
	s_mul_i32 s14, s3, s15
	s_add_co_u32 s15, s18, s20
	s_add_co_ci_u32 s16, s19, s0
	s_add_co_ci_u32 s15, s21, 0
	s_delay_alu instid0(SALU_CYCLE_1) | instskip(NEXT) | instid1(SALU_CYCLE_1)
	s_add_nc_u64 s[14:15], s[16:17], s[14:15]
	s_add_co_u32 s2, s2, s14
	s_cselect_b32 s0, -1, 0
	s_delay_alu instid0(SALU_CYCLE_1) | instskip(SKIP_1) | instid1(SALU_CYCLE_1)
	s_cmp_lg_u32 s0, 0
	s_add_co_ci_u32 s3, s3, s15
	s_mul_u64 s[8:9], s[8:9], s[2:3]
	s_delay_alu instid0(SALU_CYCLE_1)
	s_mul_hi_u32 s15, s2, s9
	s_mul_i32 s14, s2, s9
	s_mul_hi_u32 s16, s2, s8
	s_mul_i32 s18, s3, s8
	s_add_nc_u64 s[14:15], s[16:17], s[14:15]
	s_mul_hi_u32 s0, s3, s8
	s_mul_hi_u32 s19, s3, s9
	s_mul_i32 s8, s3, s9
	s_add_co_u32 s9, s14, s18
	s_add_co_ci_u32 s16, s15, s0
	s_add_co_ci_u32 s9, s19, 0
	s_delay_alu instid0(SALU_CYCLE_1) | instskip(NEXT) | instid1(SALU_CYCLE_1)
	s_add_nc_u64 s[8:9], s[16:17], s[8:9]
	s_add_co_u32 s0, s2, s8
	s_cselect_b32 s2, -1, 0
	v_nop
	v_mul_hi_u32 v14, v4, s0
	s_cmp_lg_u32 s2, 0
	s_add_co_ci_u32 s16, s3, s9
	s_mov_b64 s[2:3], 0xffffffff
	v_mul_u64_e32 v[8:9], s[16:17], v[8:9]
	s_and_b64 s[2:3], s[0:1], s[2:3]
	s_delay_alu instid0(SALU_CYCLE_1) | instskip(SKIP_1) | instid1(VALU_DEP_3)
	v_mul_u64_e32 v[12:13], s[2:3], v[10:11]
	v_mul_u64_e32 v[10:11], s[16:17], v[10:11]
	v_add_nc_u64_e32 v[8:9], v[14:15], v[8:9]
	s_delay_alu instid0(VALU_DEP_1) | instskip(NEXT) | instid1(VALU_DEP_2)
	v_add_co_u32 v6, vcc_lo, v8, v12
	v_add_co_ci_u32_e32 v6, vcc_lo, v9, v13, vcc_lo
	s_delay_alu instid0(VALU_DEP_4) | instskip(NEXT) | instid1(VALU_DEP_1)
	v_add_co_ci_u32_e32 v11, vcc_lo, 0, v11, vcc_lo
	v_add_nc_u64_e32 v[6:7], v[6:7], v[10:11]
	s_delay_alu instid0(VALU_DEP_1) | instskip(NEXT) | instid1(VALU_DEP_1)
	v_mul_u64_e32 v[8:9], s[10:11], v[6:7]
	v_sub_nc_u32_e32 v10, v5, v9
	s_delay_alu instid0(VALU_DEP_2) | instskip(NEXT) | instid1(VALU_DEP_1)
	v_sub_co_u32 v8, vcc_lo, v4, v8
	v_sub_co_ci_u32_e64 v15, null, v5, v9, vcc_lo
	s_delay_alu instid0(VALU_DEP_3) | instskip(NEXT) | instid1(VALU_DEP_3)
	v_subrev_co_ci_u32_e64 v10, null, s11, v10, vcc_lo
	v_sub_co_u32 v12, s0, v8, s10
	v_cmp_le_u32_e32 vcc_lo, s10, v8
	s_delay_alu instid0(VALU_DEP_3) | instskip(NEXT) | instid1(VALU_DEP_3)
	v_subrev_co_ci_u32_e64 v13, null, 0, v10, s0
	v_cmp_le_u32_e64 s0, s10, v12
	v_add_nc_u64_e32 v[10:11], 2, v[6:7]
	v_cndmask_b32_e64 v16, 0, -1, vcc_lo
	s_delay_alu instid0(VALU_DEP_4) | instskip(SKIP_3) | instid1(VALU_DEP_1)
	v_cmp_eq_u32_e32 vcc_lo, s11, v13
	v_add_nc_u64_e32 v[8:9], 1, v[6:7]
	v_cndmask_b32_e64 v12, 0, -1, s0
	v_cmp_le_u32_e64 s0, s11, v13
	v_cndmask_b32_e64 v14, 0, -1, s0
	v_cmp_eq_u32_e64 s0, s11, v15
	s_delay_alu instid0(VALU_DEP_2) | instskip(SKIP_2) | instid1(VALU_DEP_3)
	v_cndmask_b32_e32 v12, v14, v12, vcc_lo
	v_cmp_le_u32_e32 vcc_lo, s11, v15
	v_cndmask_b32_e64 v13, 0, -1, vcc_lo
	v_cmp_ne_u32_e32 vcc_lo, 0, v12
	s_delay_alu instid0(VALU_DEP_2) | instskip(SKIP_1) | instid1(VALU_DEP_2)
	v_dual_cndmask_b32 v12, v13, v16, s0 :: v_dual_cndmask_b32 v8, v8, v10, vcc_lo
	v_cndmask_b32_e32 v9, v9, v11, vcc_lo
	v_cmp_ne_u32_e32 vcc_lo, 0, v12
	s_delay_alu instid0(VALU_DEP_2)
	v_dual_cndmask_b32 v8, v6, v8 :: v_dual_cndmask_b32 v9, v7, v9
.LBB36_7:
	s_and_not1_saveexec_b32 s0, s1
	s_cbranch_execz .LBB36_9
; %bb.8:
	v_cvt_f32_u32_e32 v6, s10
	s_sub_co_i32 s1, 0, s10
	s_delay_alu instid0(VALU_DEP_1) | instskip(SKIP_1) | instid1(TRANS32_DEP_1)
	v_rcp_iflag_f32_e32 v6, v6
	v_nop
	v_mul_f32_e32 v6, 0x4f7ffffe, v6
	s_delay_alu instid0(VALU_DEP_1) | instskip(NEXT) | instid1(VALU_DEP_1)
	v_cvt_u32_f32_e32 v6, v6
	v_mul_lo_u32 v7, s1, v6
	s_delay_alu instid0(VALU_DEP_1) | instskip(NEXT) | instid1(VALU_DEP_1)
	v_mul_hi_u32 v7, v6, v7
	v_add_nc_u32_e32 v6, v6, v7
	s_delay_alu instid0(VALU_DEP_1) | instskip(NEXT) | instid1(VALU_DEP_1)
	v_mul_hi_u32 v6, v4, v6
	v_mul_lo_u32 v7, v6, s10
	s_delay_alu instid0(VALU_DEP_1) | instskip(NEXT) | instid1(VALU_DEP_1)
	v_dual_add_nc_u32 v8, 1, v6 :: v_dual_sub_nc_u32 v7, v4, v7
	v_subrev_nc_u32_e32 v9, s10, v7
	v_cmp_le_u32_e32 vcc_lo, s10, v7
	s_delay_alu instid0(VALU_DEP_2) | instskip(NEXT) | instid1(VALU_DEP_4)
	v_dual_cndmask_b32 v7, v7, v9, vcc_lo :: v_dual_mov_b32 v9, 0
	v_cndmask_b32_e32 v6, v6, v8, vcc_lo
	s_delay_alu instid0(VALU_DEP_2) | instskip(NEXT) | instid1(VALU_DEP_2)
	v_cmp_le_u32_e32 vcc_lo, s10, v7
	v_add_nc_u32_e32 v8, 1, v6
	s_delay_alu instid0(VALU_DEP_1)
	v_cndmask_b32_e32 v8, v6, v8, vcc_lo
.LBB36_9:
	s_or_b32 exec_lo, exec_lo, s0
	s_delay_alu instid0(VALU_DEP_1) | instskip(SKIP_1) | instid1(VALU_DEP_1)
	v_mul_u64_e32 v[6:7], s[10:11], v[8:9]
	v_mad_nc_u64_u32 v[8:9], v2, s6, v[8:9]
	v_mad_u32 v3, v3, s6, v9
	s_delay_alu instid0(VALU_DEP_1) | instskip(NEXT) | instid1(VALU_DEP_4)
	v_mad_u32 v2, v2, s7, v3
	v_sub_nc_u64_e32 v[4:5], v[4:5], v[6:7]
	s_delay_alu instid0(VALU_DEP_1) | instskip(NEXT) | instid1(VALU_DEP_1)
	v_mad_nc_u64_u32 v[4:5], v8, s4, v[4:5]
	v_mad_u32 v2, v2, s4, v5
	s_delay_alu instid0(VALU_DEP_2) | instskip(NEXT) | instid1(VALU_DEP_2)
	v_cvt_f64_u32_e32 v[6:7], v4
	v_mad_u32 v5, v8, s5, v2
                                        ; implicit-def: $vgpr8
	s_delay_alu instid0(VALU_DEP_1) | instskip(SKIP_1) | instid1(VALU_DEP_2)
	v_cvt_f64_u32_e32 v[2:3], v5
	v_cmp_lt_u64_e32 vcc_lo, 0x3fffffff, v[4:5]
                                        ; implicit-def: $vgpr4_vgpr5
	v_ldexp_f64 v[2:3], v[2:3], 32
	s_delay_alu instid0(VALU_DEP_1) | instskip(SKIP_1) | instid1(SALU_CYCLE_1)
	v_add_f64_e32 v[2:3], v[2:3], v[6:7]
                                        ; implicit-def: $vgpr6_vgpr7
	s_and_saveexec_b32 s0, vcc_lo
	s_xor_b32 s0, exec_lo, s0
	s_cbranch_execz .LBB36_11
; %bb.10:
	s_delay_alu instid0(VALU_DEP_1) | instskip(SKIP_3) | instid1(VALU_DEP_3)
	v_trig_preop_f64 v[4:5], v[2:3], 0
	v_trig_preop_f64 v[6:7], v[2:3], 1
	;; [unrolled: 1-line block ×3, first 2 shown]
	s_mov_b64 s[2:3], 0x3ff921fb54442d18
	v_dual_mul_f64 v[8:9], v[4:5], v[2:3] :: v_dual_mov_b32 v24, 0
	s_delay_alu instid0(VALU_DEP_3) | instskip(NEXT) | instid1(VALU_DEP_3)
	v_mul_f64_e32 v[10:11], v[6:7], v[2:3]
	v_mul_f64_e32 v[22:23], v[16:17], v[2:3]
	s_delay_alu instid0(VALU_DEP_3) | instskip(NEXT) | instid1(VALU_DEP_3)
	v_fma_f64 v[4:5], v[4:5], v[2:3], -v[8:9]
	v_fma_f64 v[6:7], v[6:7], v[2:3], -v[10:11]
	s_delay_alu instid0(VALU_DEP_3) | instskip(NEXT) | instid1(VALU_DEP_3)
	v_fma_f64 v[16:17], v[16:17], v[2:3], -v[22:23]
	v_add_f64_e32 v[12:13], v[10:11], v[4:5]
	s_delay_alu instid0(VALU_DEP_1) | instskip(SKIP_1) | instid1(VALU_DEP_2)
	v_add_f64_e64 v[14:15], v[12:13], -v[10:11]
	v_add_f64_e32 v[20:21], v[8:9], v[12:13]
	v_add_f64_e64 v[18:19], v[12:13], -v[14:15]
	v_add_f64_e64 v[4:5], v[4:5], -v[14:15]
	s_delay_alu instid0(VALU_DEP_3) | instskip(NEXT) | instid1(VALU_DEP_3)
	v_ldexp_f64 v[14:15], v[20:21], -2
	v_add_f64_e64 v[10:11], v[10:11], -v[18:19]
	v_add_f64_e32 v[18:19], v[22:23], v[6:7]
	s_delay_alu instid0(VALU_DEP_3) | instskip(NEXT) | instid1(VALU_DEP_3)
	v_cmp_neq_f64_e64 vcc_lo, 0x7ff00000, |v[14:15]|
	v_add_f64_e32 v[4:5], v[4:5], v[10:11]
	v_fract_f64_e32 v[10:11], v[14:15]
	s_delay_alu instid0(VALU_DEP_1) | instskip(NEXT) | instid1(VALU_DEP_1)
	v_ldexp_f64 v[10:11], v[10:11], 2
	v_dual_add_f64 v[8:9], v[20:21], -v[8:9] :: v_dual_cndmask_b32 v10, 0, v10, vcc_lo
	s_delay_alu instid0(VALU_DEP_1) | instskip(SKIP_1) | instid1(VALU_DEP_1)
	v_dual_add_f64 v[8:9], v[12:13], -v[8:9] :: v_dual_cndmask_b32 v11, 0, v11, vcc_lo
	v_add_f64_e32 v[12:13], v[18:19], v[4:5]
	v_add_f64_e32 v[14:15], v[8:9], v[12:13]
	v_add_f64_e64 v[26:27], v[12:13], -v[18:19]
	s_delay_alu instid0(VALU_DEP_2) | instskip(NEXT) | instid1(VALU_DEP_2)
	v_add_f64_e32 v[20:21], v[14:15], v[10:11]
	v_add_f64_e64 v[32:33], v[12:13], -v[26:27]
	v_add_f64_e64 v[4:5], v[4:5], -v[26:27]
	v_add_f64_e64 v[8:9], v[14:15], -v[8:9]
	s_delay_alu instid0(VALU_DEP_4) | instskip(SKIP_1) | instid1(VALU_DEP_3)
	v_cmp_gt_f64_e32 vcc_lo, 0, v[20:21]
	v_add_f64_e64 v[20:21], v[18:19], -v[22:23]
	v_add_f64_e64 v[8:9], v[12:13], -v[8:9]
	v_cndmask_b32_e64 v25, 0, 0x40100000, vcc_lo
	s_delay_alu instid0(VALU_DEP_3) | instskip(SKIP_2) | instid1(VALU_DEP_4)
	v_add_f64_e64 v[30:31], v[18:19], -v[20:21]
	v_add_f64_e64 v[6:7], v[6:7], -v[20:21]
	;; [unrolled: 1-line block ×3, first 2 shown]
	v_add_f64_e32 v[10:11], v[10:11], v[24:25]
	s_delay_alu instid0(VALU_DEP_4) | instskip(NEXT) | instid1(VALU_DEP_3)
	v_add_f64_e64 v[20:21], v[22:23], -v[30:31]
	v_add_f64_e32 v[4:5], v[4:5], v[18:19]
	s_delay_alu instid0(VALU_DEP_3) | instskip(NEXT) | instid1(VALU_DEP_3)
	v_add_f64_e32 v[28:29], v[14:15], v[10:11]
	v_add_f64_e32 v[6:7], v[6:7], v[20:21]
	s_delay_alu instid0(VALU_DEP_2) | instskip(NEXT) | instid1(VALU_DEP_2)
	v_cvt_i32_f64_e32 v25, v[28:29]
	v_add_f64_e32 v[4:5], v[6:7], v[4:5]
	s_delay_alu instid0(VALU_DEP_2) | instskip(NEXT) | instid1(VALU_DEP_2)
	v_cvt_f64_i32_e32 v[26:27], v25
	v_add_f64_e32 v[4:5], v[16:17], v[4:5]
	s_delay_alu instid0(VALU_DEP_2) | instskip(NEXT) | instid1(VALU_DEP_2)
	v_add_f64_e64 v[10:11], v[10:11], -v[26:27]
	v_add_f64_e32 v[4:5], v[8:9], v[4:5]
	s_delay_alu instid0(VALU_DEP_2) | instskip(NEXT) | instid1(VALU_DEP_1)
	v_add_f64_e32 v[6:7], v[14:15], v[10:11]
	v_add_f64_e64 v[10:11], v[6:7], -v[10:11]
	v_cmp_le_f64_e32 vcc_lo, 0.5, v[6:7]
	s_delay_alu instid0(VALU_DEP_2) | instskip(SKIP_2) | instid1(VALU_DEP_1)
	v_add_f64_e64 v[10:11], v[14:15], -v[10:11]
	v_add_co_ci_u32_e64 v8, null, 0, v25, vcc_lo
	v_cndmask_b32_e64 v25, 0, 0x3ff00000, vcc_lo
	v_add_f64_e64 v[6:7], v[6:7], -v[24:25]
	s_delay_alu instid0(VALU_DEP_4) | instskip(NEXT) | instid1(VALU_DEP_1)
	v_add_f64_e32 v[4:5], v[4:5], v[10:11]
	v_add_f64_e32 v[10:11], v[6:7], v[4:5]
	s_delay_alu instid0(VALU_DEP_1) | instskip(SKIP_1) | instid1(VALU_DEP_2)
	v_mul_f64_e32 v[12:13], 0x3ff921fb54442d18, v[10:11]
	v_add_f64_e64 v[6:7], v[10:11], -v[6:7]
	v_fma_f64 v[14:15], v[10:11], s[2:3], -v[12:13]
	s_delay_alu instid0(VALU_DEP_2) | instskip(NEXT) | instid1(VALU_DEP_2)
	v_add_f64_e64 v[4:5], v[4:5], -v[6:7]
	v_fmamk_f64 v[6:7], v[10:11], 0x3c91a62633145c07, v[14:15]
	s_delay_alu instid0(VALU_DEP_1) | instskip(NEXT) | instid1(VALU_DEP_1)
	v_fmac_f64_e32 v[6:7], 0x3ff921fb54442d18, v[4:5]
	v_add_f64_e32 v[4:5], v[12:13], v[6:7]
	s_delay_alu instid0(VALU_DEP_1) | instskip(NEXT) | instid1(VALU_DEP_1)
	v_add_f64_e64 v[10:11], v[4:5], -v[12:13]
	v_add_f64_e64 v[6:7], v[6:7], -v[10:11]
.LBB36_11:
	s_and_not1_saveexec_b32 s0, s0
	s_cbranch_execz .LBB36_13
; %bb.12:
	s_delay_alu instid0(VALU_DEP_1) | instskip(NEXT) | instid1(VALU_DEP_1)
	v_mul_f64_e32 v[4:5], 0x3fe45f306dc9c883, v[2:3]
	v_rndne_f64_e32 v[8:9], v[4:5]
	s_delay_alu instid0(VALU_DEP_1) | instskip(SKIP_1) | instid1(VALU_DEP_1)
	v_mul_f64_e32 v[4:5], 0xbc91a62633145c00, v[8:9]
	v_fmamk_f64 v[6:7], v[8:9], 0xbff921fb54442d18, v[2:3]
	v_add_f64_e32 v[10:11], v[6:7], v[4:5]
	s_delay_alu instid0(VALU_DEP_1) | instskip(SKIP_1) | instid1(VALU_DEP_1)
	v_add_f64_e64 v[12:13], v[6:7], -v[10:11]
	v_fmamk_f64 v[6:7], v[8:9], 0xbc91a62633145c00, v[6:7]
	v_add_f64_e64 v[10:11], v[10:11], -v[6:7]
	s_delay_alu instid0(VALU_DEP_3) | instskip(SKIP_1) | instid1(VALU_DEP_2)
	v_add_f64_e32 v[12:13], v[12:13], v[4:5]
	v_fmamk_f64 v[4:5], v[8:9], 0x3c91a62633145c00, v[4:5]
	v_add_f64_e32 v[10:11], v[10:11], v[12:13]
	s_delay_alu instid0(VALU_DEP_1) | instskip(NEXT) | instid1(VALU_DEP_1)
	v_add_f64_e64 v[4:5], v[10:11], -v[4:5]
	v_fmamk_f64 v[10:11], v[8:9], 0xb97b839a252049c0, v[4:5]
	v_cvt_i32_f64_e32 v8, v[8:9]
	s_delay_alu instid0(VALU_DEP_2) | instskip(NEXT) | instid1(VALU_DEP_1)
	v_add_f64_e32 v[4:5], v[6:7], v[10:11]
	v_add_f64_e64 v[6:7], v[4:5], -v[6:7]
	s_delay_alu instid0(VALU_DEP_1)
	v_add_f64_e64 v[6:7], v[10:11], -v[6:7]
.LBB36_13:
	s_or_b32 exec_lo, exec_lo, s0
	v_mul_f64_e32 v[10:11], v[4:5], v[4:5]
	s_delay_alu instid0(VALU_DEP_2) | instskip(SKIP_2) | instid1(VALU_DEP_1)
	v_mul_f64_e32 v[18:19], 0.5, v[6:7]
	s_mov_b64 s[0:1], 0x3de5e0b2f9a43bb8
	v_dual_lshlrev_b32 v8, 30, v8 :: v_dual_bitop2_b32 v2, 1, v8 bitop3:0x40
	v_cmp_eq_u32_e32 vcc_lo, 0, v2
	s_delay_alu instid0(VALU_DEP_2) | instskip(SKIP_4) | instid1(VALU_DEP_3)
	v_xor_b32_e32 v3, v8, v3
	v_mul_f64_e32 v[12:13], 0.5, v[10:11]
	v_mul_f64_e64 v[20:21], v[4:5], -v[10:11]
	v_fmaak_f64 v[22:23], s[0:1], v[10:11], 0xbe5ae600b42fdfa7
	s_mov_b64 s[0:1], 0xbda907db46cc5e42
	v_add_f64_e64 v[14:15], -v[12:13], 1.0
	s_delay_alu instid0(VALU_DEP_1) | instskip(NEXT) | instid1(VALU_DEP_1)
	v_add_f64_e64 v[16:17], -v[14:15], 1.0
	v_add_f64_e64 v[12:13], v[16:17], -v[12:13]
	s_delay_alu instid0(VALU_DEP_4) | instskip(SKIP_1) | instid1(VALU_DEP_2)
	v_fmaak_f64 v[16:17], v[10:11], v[22:23], 0x3ec71de3796cde01
	v_mul_f64_e32 v[22:23], v[10:11], v[10:11]
	v_fmaak_f64 v[16:17], v[10:11], v[16:17], 0xbf2a01a019e83e5c
	s_delay_alu instid0(VALU_DEP_1) | instskip(NEXT) | instid1(VALU_DEP_1)
	v_fmaak_f64 v[16:17], v[10:11], v[16:17], 0x3f81111111110bb3
	v_fmac_f64_e32 v[18:19], v[20:21], v[16:17]
	v_fmaak_f64 v[16:17], s[0:1], v[10:11], 0x3e21eeb69037ab78
	s_delay_alu instid0(VALU_DEP_1) | instskip(SKIP_1) | instid1(VALU_DEP_2)
	v_fmaak_f64 v[16:17], v[10:11], v[16:17], 0xbe927e4fa17f65f6
	v_fma_f64 v[12:13], v[4:5], -v[6:7], v[12:13]
	v_fmaak_f64 v[16:17], v[10:11], v[16:17], 0x3efa01a019f4ec90
	s_delay_alu instid0(VALU_DEP_1) | instskip(SKIP_1) | instid1(VALU_DEP_2)
	v_fmaak_f64 v[16:17], v[10:11], v[16:17], 0xbf56c16c16c16967
	v_fma_f64 v[6:7], v[10:11], v[18:19], -v[6:7]
	v_fmaak_f64 v[10:11], v[10:11], v[16:17], 0x3fa5555555555555
	s_delay_alu instid0(VALU_DEP_1) | instskip(NEXT) | instid1(VALU_DEP_3)
	v_fmac_f64_e32 v[12:13], v[22:23], v[10:11]
	v_fmamk_f64 v[6:7], v[20:21], 0xbfc5555555555555, v[6:7]
	s_delay_alu instid0(VALU_DEP_1) | instskip(NEXT) | instid1(VALU_DEP_3)
	v_add_f64_e64 v[4:5], v[4:5], -v[6:7]
	v_add_f64_e32 v[6:7], v[14:15], v[12:13]
	s_delay_alu instid0(VALU_DEP_1) | instskip(NEXT) | instid1(VALU_DEP_1)
	v_dual_cndmask_b32 v2, v6, v4, vcc_lo :: v_dual_cndmask_b32 v4, v7, v5, vcc_lo
	v_bitop3_b32 v3, v4, v3, 0x80000000 bitop3:0x78
	s_delay_alu instid0(VALU_DEP_1) | instskip(NEXT) | instid1(VALU_DEP_1)
	v_cvt_f32_f64_e32 v2, v[2:3]
	v_and_b32_e32 v3, 0x7f800000, v2
	s_delay_alu instid0(VALU_DEP_1) | instskip(SKIP_1) | instid1(SALU_CYCLE_1)
	v_cmp_ne_u32_e32 vcc_lo, 0x7f800000, v3
                                        ; implicit-def: $vgpr3
	s_and_saveexec_b32 s0, vcc_lo
	s_xor_b32 s0, exec_lo, s0
; %bb.14:
	v_bfe_u32 v3, v2, 16, 1
	s_delay_alu instid0(VALU_DEP_1)
	v_add3_u32 v3, v2, v3, 0x7fff
                                        ; implicit-def: $vgpr2
; %bb.15:
	s_and_not1_saveexec_b32 s0, s0
; %bb.16:
	v_and_b32_e32 v3, 0xffff, v2
	v_or_b32_e32 v4, 0x10000, v2
	s_delay_alu instid0(VALU_DEP_2) | instskip(NEXT) | instid1(VALU_DEP_2)
	v_cmp_eq_u32_e32 vcc_lo, 0, v3
	v_cndmask_b32_e32 v3, v4, v2, vcc_lo
; %bb.17:
	s_or_b32 exec_lo, exec_lo, s0
	v_lshl_add_u64 v[0:1], v[0:1], 1, s[12:13]
	global_store_d16_hi_b16 v[0:1], v3, off
.LBB36_18:
	s_endpgm
	.section	.rodata,"a",@progbits
	.p2align	6, 0x0
	.amdhsa_kernel _Z11fill_kernelI12hip_bfloat16Z21hipblaslt_init_deviceIS0_Ev8ABC_dims24hipblaslt_initializationbPT_mmmmmEUlmE2_EvS5_mmT0_
		.amdhsa_group_segment_fixed_size 0
		.amdhsa_private_segment_fixed_size 0
		.amdhsa_kernarg_size 312
		.amdhsa_user_sgpr_count 2
		.amdhsa_user_sgpr_dispatch_ptr 0
		.amdhsa_user_sgpr_queue_ptr 0
		.amdhsa_user_sgpr_kernarg_segment_ptr 1
		.amdhsa_user_sgpr_dispatch_id 0
		.amdhsa_user_sgpr_kernarg_preload_length 0
		.amdhsa_user_sgpr_kernarg_preload_offset 0
		.amdhsa_user_sgpr_private_segment_size 0
		.amdhsa_wavefront_size32 1
		.amdhsa_uses_dynamic_stack 0
		.amdhsa_enable_private_segment 0
		.amdhsa_system_sgpr_workgroup_id_x 1
		.amdhsa_system_sgpr_workgroup_id_y 0
		.amdhsa_system_sgpr_workgroup_id_z 0
		.amdhsa_system_sgpr_workgroup_info 0
		.amdhsa_system_vgpr_workitem_id 0
		.amdhsa_next_free_vgpr 34
		.amdhsa_next_free_sgpr 24
		.amdhsa_named_barrier_count 0
		.amdhsa_reserve_vcc 1
		.amdhsa_float_round_mode_32 0
		.amdhsa_float_round_mode_16_64 0
		.amdhsa_float_denorm_mode_32 3
		.amdhsa_float_denorm_mode_16_64 3
		.amdhsa_fp16_overflow 0
		.amdhsa_memory_ordered 1
		.amdhsa_forward_progress 1
		.amdhsa_inst_pref_size 23
		.amdhsa_round_robin_scheduling 0
		.amdhsa_exception_fp_ieee_invalid_op 0
		.amdhsa_exception_fp_denorm_src 0
		.amdhsa_exception_fp_ieee_div_zero 0
		.amdhsa_exception_fp_ieee_overflow 0
		.amdhsa_exception_fp_ieee_underflow 0
		.amdhsa_exception_fp_ieee_inexact 0
		.amdhsa_exception_int_div_zero 0
	.end_amdhsa_kernel
	.section	.text._Z11fill_kernelI12hip_bfloat16Z21hipblaslt_init_deviceIS0_Ev8ABC_dims24hipblaslt_initializationbPT_mmmmmEUlmE2_EvS5_mmT0_,"axG",@progbits,_Z11fill_kernelI12hip_bfloat16Z21hipblaslt_init_deviceIS0_Ev8ABC_dims24hipblaslt_initializationbPT_mmmmmEUlmE2_EvS5_mmT0_,comdat
.Lfunc_end36:
	.size	_Z11fill_kernelI12hip_bfloat16Z21hipblaslt_init_deviceIS0_Ev8ABC_dims24hipblaslt_initializationbPT_mmmmmEUlmE2_EvS5_mmT0_, .Lfunc_end36-_Z11fill_kernelI12hip_bfloat16Z21hipblaslt_init_deviceIS0_Ev8ABC_dims24hipblaslt_initializationbPT_mmmmmEUlmE2_EvS5_mmT0_
                                        ; -- End function
	.set _Z11fill_kernelI12hip_bfloat16Z21hipblaslt_init_deviceIS0_Ev8ABC_dims24hipblaslt_initializationbPT_mmmmmEUlmE2_EvS5_mmT0_.num_vgpr, 34
	.set _Z11fill_kernelI12hip_bfloat16Z21hipblaslt_init_deviceIS0_Ev8ABC_dims24hipblaslt_initializationbPT_mmmmmEUlmE2_EvS5_mmT0_.num_agpr, 0
	.set _Z11fill_kernelI12hip_bfloat16Z21hipblaslt_init_deviceIS0_Ev8ABC_dims24hipblaslt_initializationbPT_mmmmmEUlmE2_EvS5_mmT0_.numbered_sgpr, 24
	.set _Z11fill_kernelI12hip_bfloat16Z21hipblaslt_init_deviceIS0_Ev8ABC_dims24hipblaslt_initializationbPT_mmmmmEUlmE2_EvS5_mmT0_.num_named_barrier, 0
	.set _Z11fill_kernelI12hip_bfloat16Z21hipblaslt_init_deviceIS0_Ev8ABC_dims24hipblaslt_initializationbPT_mmmmmEUlmE2_EvS5_mmT0_.private_seg_size, 0
	.set _Z11fill_kernelI12hip_bfloat16Z21hipblaslt_init_deviceIS0_Ev8ABC_dims24hipblaslt_initializationbPT_mmmmmEUlmE2_EvS5_mmT0_.uses_vcc, 1
	.set _Z11fill_kernelI12hip_bfloat16Z21hipblaslt_init_deviceIS0_Ev8ABC_dims24hipblaslt_initializationbPT_mmmmmEUlmE2_EvS5_mmT0_.uses_flat_scratch, 0
	.set _Z11fill_kernelI12hip_bfloat16Z21hipblaslt_init_deviceIS0_Ev8ABC_dims24hipblaslt_initializationbPT_mmmmmEUlmE2_EvS5_mmT0_.has_dyn_sized_stack, 0
	.set _Z11fill_kernelI12hip_bfloat16Z21hipblaslt_init_deviceIS0_Ev8ABC_dims24hipblaslt_initializationbPT_mmmmmEUlmE2_EvS5_mmT0_.has_recursion, 0
	.set _Z11fill_kernelI12hip_bfloat16Z21hipblaslt_init_deviceIS0_Ev8ABC_dims24hipblaslt_initializationbPT_mmmmmEUlmE2_EvS5_mmT0_.has_indirect_call, 0
	.section	.AMDGPU.csdata,"",@progbits
; Kernel info:
; codeLenInByte = 2844
; TotalNumSgprs: 26
; NumVgprs: 34
; ScratchSize: 0
; MemoryBound: 0
; FloatMode: 240
; IeeeMode: 1
; LDSByteSize: 0 bytes/workgroup (compile time only)
; SGPRBlocks: 0
; VGPRBlocks: 2
; NumSGPRsForWavesPerEU: 26
; NumVGPRsForWavesPerEU: 34
; NamedBarCnt: 0
; Occupancy: 16
; WaveLimiterHint : 0
; COMPUTE_PGM_RSRC2:SCRATCH_EN: 0
; COMPUTE_PGM_RSRC2:USER_SGPR: 2
; COMPUTE_PGM_RSRC2:TRAP_HANDLER: 0
; COMPUTE_PGM_RSRC2:TGID_X_EN: 1
; COMPUTE_PGM_RSRC2:TGID_Y_EN: 0
; COMPUTE_PGM_RSRC2:TGID_Z_EN: 0
; COMPUTE_PGM_RSRC2:TIDIG_COMP_CNT: 0
	.section	.text._Z11fill_kernelI12hip_bfloat16Z21hipblaslt_init_deviceIS0_Ev8ABC_dims24hipblaslt_initializationbPT_mmmmmEUlmE3_EvS5_mmT0_,"axG",@progbits,_Z11fill_kernelI12hip_bfloat16Z21hipblaslt_init_deviceIS0_Ev8ABC_dims24hipblaslt_initializationbPT_mmmmmEUlmE3_EvS5_mmT0_,comdat
	.protected	_Z11fill_kernelI12hip_bfloat16Z21hipblaslt_init_deviceIS0_Ev8ABC_dims24hipblaslt_initializationbPT_mmmmmEUlmE3_EvS5_mmT0_ ; -- Begin function _Z11fill_kernelI12hip_bfloat16Z21hipblaslt_init_deviceIS0_Ev8ABC_dims24hipblaslt_initializationbPT_mmmmmEUlmE3_EvS5_mmT0_
	.globl	_Z11fill_kernelI12hip_bfloat16Z21hipblaslt_init_deviceIS0_Ev8ABC_dims24hipblaslt_initializationbPT_mmmmmEUlmE3_EvS5_mmT0_
	.p2align	8
	.type	_Z11fill_kernelI12hip_bfloat16Z21hipblaslt_init_deviceIS0_Ev8ABC_dims24hipblaslt_initializationbPT_mmmmmEUlmE3_EvS5_mmT0_,@function
_Z11fill_kernelI12hip_bfloat16Z21hipblaslt_init_deviceIS0_Ev8ABC_dims24hipblaslt_initializationbPT_mmmmmEUlmE3_EvS5_mmT0_: ; @_Z11fill_kernelI12hip_bfloat16Z21hipblaslt_init_deviceIS0_Ev8ABC_dims24hipblaslt_initializationbPT_mmmmmEUlmE3_EvS5_mmT0_
; %bb.0:
	s_clause 0x1
	s_load_b32 s2, s[0:1], 0x44
	s_load_b128 s[12:15], s[0:1], 0x0
	s_bfe_u32 s3, ttmp6, 0x4000c
	s_and_b32 s4, ttmp6, 15
	s_add_co_i32 s3, s3, 1
	s_getreg_b32 s5, hwreg(HW_REG_IB_STS2, 6, 4)
	s_mul_i32 s3, ttmp9, s3
	v_mov_b32_e32 v3, 0
	s_add_co_i32 s4, s4, s3
	s_wait_kmcnt 0x0
	s_and_b32 s2, s2, 0xffff
	s_cmp_eq_u32 s5, 0
	s_cselect_b32 s3, ttmp9, s4
	s_delay_alu instid0(SALU_CYCLE_1) | instskip(SKIP_1) | instid1(VALU_DEP_1)
	v_mad_u32 v2, s3, s2, v0
	s_mov_b32 s2, exec_lo
	v_cmpx_gt_u64_e64 s[14:15], v[2:3]
	s_cbranch_execz .LBB37_18
; %bb.1:
	s_clause 0x1
	s_load_b64 s[2:3], s[0:1], 0x10
	s_load_b256 s[4:11], s[0:1], 0x18
	s_wait_xcnt 0x0
	s_mov_b32 s0, exec_lo
	v_mov_b32_e32 v4, v3
	s_wait_kmcnt 0x0
	v_add_nc_u64_e32 v[0:1], s[2:3], v[2:3]
                                        ; implicit-def: $vgpr2_vgpr3
	s_delay_alu instid0(VALU_DEP_1) | instskip(NEXT) | instid1(VALU_DEP_1)
	v_or_b32_e32 v5, s9, v1
	v_cmpx_ne_u64_e32 0, v[4:5]
	s_xor_b32 s1, exec_lo, s0
	s_cbranch_execz .LBB37_3
; %bb.2:
	s_cvt_f32_u32 s0, s8
	s_cvt_f32_u32 s2, s9
	s_sub_nc_u64 s[14:15], 0, s[8:9]
	s_mov_b32 s19, 0
	v_dual_mov_b32 v3, 0 :: v_dual_mov_b32 v2, v0
	s_fmamk_f32 s0, s2, 0x4f800000, s0
	s_delay_alu instid0(SALU_CYCLE_3) | instskip(NEXT) | instid1(TRANS32_DEP_1)
	v_s_rcp_f32 s0, s0
	s_mul_f32 s0, s0, 0x5f7ffffc
	s_delay_alu instid0(SALU_CYCLE_3) | instskip(NEXT) | instid1(SALU_CYCLE_3)
	s_mul_f32 s2, s0, 0x2f800000
	s_trunc_f32 s2, s2
	s_delay_alu instid0(SALU_CYCLE_3) | instskip(SKIP_1) | instid1(SALU_CYCLE_2)
	s_fmamk_f32 s0, s2, 0xcf800000, s0
	s_cvt_u32_f32 s3, s2
	s_cvt_u32_f32 s2, s0
	s_delay_alu instid0(SALU_CYCLE_3) | instskip(NEXT) | instid1(SALU_CYCLE_1)
	s_mul_u64 s[16:17], s[14:15], s[2:3]
	s_mul_hi_u32 s21, s2, s17
	s_mul_i32 s20, s2, s17
	s_mul_hi_u32 s18, s2, s16
	s_mul_i32 s22, s3, s16
	s_add_nc_u64 s[20:21], s[18:19], s[20:21]
	s_mul_hi_u32 s0, s3, s16
	s_mul_hi_u32 s23, s3, s17
	s_mul_i32 s16, s3, s17
	s_add_co_u32 s17, s20, s22
	s_add_co_ci_u32 s18, s21, s0
	s_add_co_ci_u32 s17, s23, 0
	s_delay_alu instid0(SALU_CYCLE_1) | instskip(NEXT) | instid1(SALU_CYCLE_1)
	s_add_nc_u64 s[16:17], s[18:19], s[16:17]
	s_add_co_u32 s2, s2, s16
	s_cselect_b32 s0, -1, 0
	s_delay_alu instid0(SALU_CYCLE_1) | instskip(SKIP_1) | instid1(SALU_CYCLE_1)
	s_cmp_lg_u32 s0, 0
	s_add_co_ci_u32 s3, s3, s17
	s_mul_u64 s[14:15], s[14:15], s[2:3]
	s_delay_alu instid0(SALU_CYCLE_1)
	s_mul_hi_u32 s17, s2, s15
	s_mul_i32 s16, s2, s15
	s_mul_hi_u32 s18, s2, s14
	s_mul_i32 s20, s3, s14
	s_add_nc_u64 s[16:17], s[18:19], s[16:17]
	s_mul_hi_u32 s0, s3, s14
	s_mul_hi_u32 s21, s3, s15
	s_mul_i32 s14, s3, s15
	s_add_co_u32 s15, s16, s20
	s_add_co_ci_u32 s18, s17, s0
	s_add_co_ci_u32 s15, s21, 0
	s_delay_alu instid0(SALU_CYCLE_1) | instskip(NEXT) | instid1(SALU_CYCLE_1)
	s_add_nc_u64 s[14:15], s[18:19], s[14:15]
	s_add_co_u32 s0, s2, s14
	s_cselect_b32 s2, -1, 0
	s_delay_alu instid0(SALU_CYCLE_1)
	s_cmp_lg_u32 s2, 0
	s_add_co_ci_u32 s18, s3, s15
	s_mov_b64 s[2:3], 0xffffffff
	v_mul_u64_e32 v[4:5], s[18:19], v[2:3]
	v_mul_hi_u32 v2, v0, s0
	s_and_b64 s[2:3], s[0:1], s[2:3]
	s_delay_alu instid0(VALU_DEP_1) | instskip(SKIP_1) | instid1(VALU_DEP_1)
	v_add_nc_u64_e32 v[4:5], v[2:3], v[4:5]
	v_mov_b32_e32 v2, v1
	v_mul_u64_e32 v[6:7], s[2:3], v[2:3]
	v_mul_u64_e32 v[8:9], s[18:19], v[2:3]
	s_delay_alu instid0(VALU_DEP_2) | instskip(NEXT) | instid1(VALU_DEP_3)
	v_add_co_u32 v2, vcc_lo, v4, v6
	v_add_co_ci_u32_e32 v2, vcc_lo, v5, v7, vcc_lo
	s_delay_alu instid0(VALU_DEP_3) | instskip(NEXT) | instid1(VALU_DEP_1)
	v_add_co_ci_u32_e32 v9, vcc_lo, 0, v9, vcc_lo
	v_add_nc_u64_e32 v[2:3], v[2:3], v[8:9]
	s_delay_alu instid0(VALU_DEP_1) | instskip(NEXT) | instid1(VALU_DEP_1)
	v_mul_u64_e32 v[4:5], s[8:9], v[2:3]
	v_sub_nc_u32_e32 v6, v1, v5
	s_delay_alu instid0(VALU_DEP_2) | instskip(NEXT) | instid1(VALU_DEP_1)
	v_sub_co_u32 v4, vcc_lo, v0, v4
	v_sub_co_ci_u32_e64 v11, null, v1, v5, vcc_lo
	s_delay_alu instid0(VALU_DEP_3) | instskip(NEXT) | instid1(VALU_DEP_3)
	v_subrev_co_ci_u32_e64 v6, null, s9, v6, vcc_lo
	v_sub_co_u32 v8, s0, v4, s8
	v_cmp_le_u32_e32 vcc_lo, s8, v4
	s_delay_alu instid0(VALU_DEP_3) | instskip(NEXT) | instid1(VALU_DEP_3)
	v_subrev_co_ci_u32_e64 v9, null, 0, v6, s0
	v_cmp_le_u32_e64 s0, s8, v8
	v_add_nc_u64_e32 v[6:7], 2, v[2:3]
	v_cndmask_b32_e64 v12, 0, -1, vcc_lo
	s_delay_alu instid0(VALU_DEP_4) | instskip(SKIP_3) | instid1(VALU_DEP_1)
	v_cmp_eq_u32_e32 vcc_lo, s9, v9
	v_add_nc_u64_e32 v[4:5], 1, v[2:3]
	v_cndmask_b32_e64 v8, 0, -1, s0
	v_cmp_le_u32_e64 s0, s9, v9
	v_cndmask_b32_e64 v10, 0, -1, s0
	v_cmp_eq_u32_e64 s0, s9, v11
	s_delay_alu instid0(VALU_DEP_2) | instskip(SKIP_2) | instid1(VALU_DEP_3)
	v_cndmask_b32_e32 v8, v10, v8, vcc_lo
	v_cmp_le_u32_e32 vcc_lo, s9, v11
	v_cndmask_b32_e64 v9, 0, -1, vcc_lo
	v_cmp_ne_u32_e32 vcc_lo, 0, v8
	s_delay_alu instid0(VALU_DEP_2) | instskip(SKIP_1) | instid1(VALU_DEP_2)
	v_dual_cndmask_b32 v8, v9, v12, s0 :: v_dual_cndmask_b32 v4, v4, v6, vcc_lo
	v_cndmask_b32_e32 v5, v5, v7, vcc_lo
	v_cmp_ne_u32_e32 vcc_lo, 0, v8
	s_delay_alu instid0(VALU_DEP_2)
	v_dual_cndmask_b32 v3, v3, v5 :: v_dual_cndmask_b32 v2, v2, v4
.LBB37_3:
	s_and_not1_saveexec_b32 s0, s1
	s_cbranch_execz .LBB37_5
; %bb.4:
	v_cvt_f32_u32_e32 v2, s8
	s_sub_co_i32 s1, 0, s8
	s_delay_alu instid0(VALU_DEP_1) | instskip(SKIP_1) | instid1(TRANS32_DEP_1)
	v_rcp_iflag_f32_e32 v2, v2
	v_nop
	v_mul_f32_e32 v2, 0x4f7ffffe, v2
	s_delay_alu instid0(VALU_DEP_1) | instskip(NEXT) | instid1(VALU_DEP_1)
	v_cvt_u32_f32_e32 v2, v2
	v_mul_lo_u32 v3, s1, v2
	s_delay_alu instid0(VALU_DEP_1) | instskip(NEXT) | instid1(VALU_DEP_1)
	v_mul_hi_u32 v3, v2, v3
	v_add_nc_u32_e32 v2, v2, v3
	s_delay_alu instid0(VALU_DEP_1) | instskip(NEXT) | instid1(VALU_DEP_1)
	v_mul_hi_u32 v2, v0, v2
	v_mul_lo_u32 v3, v2, s8
	s_delay_alu instid0(VALU_DEP_1) | instskip(NEXT) | instid1(VALU_DEP_1)
	v_dual_add_nc_u32 v4, 1, v2 :: v_dual_sub_nc_u32 v3, v0, v3
	v_subrev_nc_u32_e32 v5, s8, v3
	v_cmp_le_u32_e32 vcc_lo, s8, v3
	s_delay_alu instid0(VALU_DEP_2) | instskip(NEXT) | instid1(VALU_DEP_1)
	v_dual_cndmask_b32 v3, v3, v5 :: v_dual_cndmask_b32 v2, v2, v4
	v_cmp_le_u32_e32 vcc_lo, s8, v3
	s_delay_alu instid0(VALU_DEP_2) | instskip(NEXT) | instid1(VALU_DEP_1)
	v_dual_mov_b32 v3, 0 :: v_dual_add_nc_u32 v4, 1, v2
	v_cndmask_b32_e32 v2, v2, v4, vcc_lo
.LBB37_5:
	s_or_b32 exec_lo, exec_lo, s0
	s_delay_alu instid0(VALU_DEP_1) | instskip(SKIP_2) | instid1(VALU_DEP_2)
	v_mul_u64_e32 v[4:5], s[8:9], v[2:3]
                                        ; implicit-def: $vgpr8_vgpr9
	s_mov_b32 s0, exec_lo
	v_mov_b32_e32 v6, 0
	v_sub_nc_u64_e32 v[4:5], v[0:1], v[4:5]
	s_delay_alu instid0(VALU_DEP_1) | instskip(NEXT) | instid1(VALU_DEP_1)
	v_or_b32_e32 v7, s11, v5
	v_cmpx_ne_u64_e32 0, v[6:7]
	s_xor_b32 s1, exec_lo, s0
	s_cbranch_execz .LBB37_7
; %bb.6:
	s_cvt_f32_u32 s0, s10
	s_cvt_f32_u32 s2, s11
	s_sub_nc_u64 s[8:9], 0, s[10:11]
	s_mov_b32 s17, 0
	v_dual_mov_b32 v8, v4 :: v_dual_mov_b32 v9, v6
	s_fmamk_f32 s0, s2, 0x4f800000, s0
	v_dual_mov_b32 v10, v5 :: v_dual_mov_b32 v11, v6
	v_dual_mov_b32 v15, v6 :: v_dual_mov_b32 v7, v6
	s_delay_alu instid0(SALU_CYCLE_1) | instskip(NEXT) | instid1(TRANS32_DEP_1)
	v_s_rcp_f32 s0, s0
	s_mul_f32 s0, s0, 0x5f7ffffc
	s_delay_alu instid0(SALU_CYCLE_3) | instskip(NEXT) | instid1(SALU_CYCLE_3)
	s_mul_f32 s2, s0, 0x2f800000
	s_trunc_f32 s2, s2
	s_delay_alu instid0(SALU_CYCLE_3) | instskip(SKIP_1) | instid1(SALU_CYCLE_2)
	s_fmamk_f32 s0, s2, 0xcf800000, s0
	s_cvt_u32_f32 s3, s2
	s_cvt_u32_f32 s2, s0
	s_delay_alu instid0(SALU_CYCLE_3) | instskip(NEXT) | instid1(SALU_CYCLE_1)
	s_mul_u64 s[14:15], s[8:9], s[2:3]
	s_mul_hi_u32 s19, s2, s15
	s_mul_i32 s18, s2, s15
	s_mul_hi_u32 s16, s2, s14
	s_mul_i32 s20, s3, s14
	s_add_nc_u64 s[18:19], s[16:17], s[18:19]
	s_mul_hi_u32 s0, s3, s14
	s_mul_hi_u32 s21, s3, s15
	s_mul_i32 s14, s3, s15
	s_add_co_u32 s15, s18, s20
	s_add_co_ci_u32 s16, s19, s0
	s_add_co_ci_u32 s15, s21, 0
	s_delay_alu instid0(SALU_CYCLE_1) | instskip(NEXT) | instid1(SALU_CYCLE_1)
	s_add_nc_u64 s[14:15], s[16:17], s[14:15]
	s_add_co_u32 s2, s2, s14
	s_cselect_b32 s0, -1, 0
	s_delay_alu instid0(SALU_CYCLE_1) | instskip(SKIP_1) | instid1(SALU_CYCLE_1)
	s_cmp_lg_u32 s0, 0
	s_add_co_ci_u32 s3, s3, s15
	s_mul_u64 s[8:9], s[8:9], s[2:3]
	s_delay_alu instid0(SALU_CYCLE_1)
	s_mul_hi_u32 s15, s2, s9
	s_mul_i32 s14, s2, s9
	s_mul_hi_u32 s16, s2, s8
	s_mul_i32 s18, s3, s8
	s_add_nc_u64 s[14:15], s[16:17], s[14:15]
	s_mul_hi_u32 s0, s3, s8
	s_mul_hi_u32 s19, s3, s9
	s_mul_i32 s8, s3, s9
	s_add_co_u32 s9, s14, s18
	s_add_co_ci_u32 s16, s15, s0
	s_add_co_ci_u32 s9, s19, 0
	s_delay_alu instid0(SALU_CYCLE_1) | instskip(NEXT) | instid1(SALU_CYCLE_1)
	s_add_nc_u64 s[8:9], s[16:17], s[8:9]
	s_add_co_u32 s0, s2, s8
	s_cselect_b32 s2, -1, 0
	v_nop
	v_mul_hi_u32 v14, v4, s0
	s_cmp_lg_u32 s2, 0
	s_add_co_ci_u32 s16, s3, s9
	s_mov_b64 s[2:3], 0xffffffff
	v_mul_u64_e32 v[8:9], s[16:17], v[8:9]
	s_and_b64 s[2:3], s[0:1], s[2:3]
	s_delay_alu instid0(SALU_CYCLE_1) | instskip(SKIP_1) | instid1(VALU_DEP_3)
	v_mul_u64_e32 v[12:13], s[2:3], v[10:11]
	v_mul_u64_e32 v[10:11], s[16:17], v[10:11]
	v_add_nc_u64_e32 v[8:9], v[14:15], v[8:9]
	s_delay_alu instid0(VALU_DEP_1) | instskip(NEXT) | instid1(VALU_DEP_2)
	v_add_co_u32 v6, vcc_lo, v8, v12
	v_add_co_ci_u32_e32 v6, vcc_lo, v9, v13, vcc_lo
	s_delay_alu instid0(VALU_DEP_4) | instskip(NEXT) | instid1(VALU_DEP_1)
	v_add_co_ci_u32_e32 v11, vcc_lo, 0, v11, vcc_lo
	v_add_nc_u64_e32 v[6:7], v[6:7], v[10:11]
	s_delay_alu instid0(VALU_DEP_1) | instskip(NEXT) | instid1(VALU_DEP_1)
	v_mul_u64_e32 v[8:9], s[10:11], v[6:7]
	v_sub_nc_u32_e32 v10, v5, v9
	s_delay_alu instid0(VALU_DEP_2) | instskip(NEXT) | instid1(VALU_DEP_1)
	v_sub_co_u32 v8, vcc_lo, v4, v8
	v_sub_co_ci_u32_e64 v15, null, v5, v9, vcc_lo
	s_delay_alu instid0(VALU_DEP_3) | instskip(NEXT) | instid1(VALU_DEP_3)
	v_subrev_co_ci_u32_e64 v10, null, s11, v10, vcc_lo
	v_sub_co_u32 v12, s0, v8, s10
	v_cmp_le_u32_e32 vcc_lo, s10, v8
	s_delay_alu instid0(VALU_DEP_3) | instskip(NEXT) | instid1(VALU_DEP_3)
	v_subrev_co_ci_u32_e64 v13, null, 0, v10, s0
	v_cmp_le_u32_e64 s0, s10, v12
	v_add_nc_u64_e32 v[10:11], 2, v[6:7]
	v_cndmask_b32_e64 v16, 0, -1, vcc_lo
	s_delay_alu instid0(VALU_DEP_4) | instskip(SKIP_3) | instid1(VALU_DEP_1)
	v_cmp_eq_u32_e32 vcc_lo, s11, v13
	v_add_nc_u64_e32 v[8:9], 1, v[6:7]
	v_cndmask_b32_e64 v12, 0, -1, s0
	v_cmp_le_u32_e64 s0, s11, v13
	v_cndmask_b32_e64 v14, 0, -1, s0
	v_cmp_eq_u32_e64 s0, s11, v15
	s_delay_alu instid0(VALU_DEP_2) | instskip(SKIP_2) | instid1(VALU_DEP_3)
	v_cndmask_b32_e32 v12, v14, v12, vcc_lo
	v_cmp_le_u32_e32 vcc_lo, s11, v15
	v_cndmask_b32_e64 v13, 0, -1, vcc_lo
	v_cmp_ne_u32_e32 vcc_lo, 0, v12
	s_delay_alu instid0(VALU_DEP_2) | instskip(SKIP_1) | instid1(VALU_DEP_2)
	v_dual_cndmask_b32 v12, v13, v16, s0 :: v_dual_cndmask_b32 v8, v8, v10, vcc_lo
	v_cndmask_b32_e32 v9, v9, v11, vcc_lo
	v_cmp_ne_u32_e32 vcc_lo, 0, v12
	s_delay_alu instid0(VALU_DEP_2)
	v_dual_cndmask_b32 v8, v6, v8 :: v_dual_cndmask_b32 v9, v7, v9
.LBB37_7:
	s_and_not1_saveexec_b32 s0, s1
	s_cbranch_execz .LBB37_9
; %bb.8:
	v_cvt_f32_u32_e32 v6, s10
	s_sub_co_i32 s1, 0, s10
	s_delay_alu instid0(VALU_DEP_1) | instskip(SKIP_1) | instid1(TRANS32_DEP_1)
	v_rcp_iflag_f32_e32 v6, v6
	v_nop
	v_mul_f32_e32 v6, 0x4f7ffffe, v6
	s_delay_alu instid0(VALU_DEP_1) | instskip(NEXT) | instid1(VALU_DEP_1)
	v_cvt_u32_f32_e32 v6, v6
	v_mul_lo_u32 v7, s1, v6
	s_delay_alu instid0(VALU_DEP_1) | instskip(NEXT) | instid1(VALU_DEP_1)
	v_mul_hi_u32 v7, v6, v7
	v_add_nc_u32_e32 v6, v6, v7
	s_delay_alu instid0(VALU_DEP_1) | instskip(NEXT) | instid1(VALU_DEP_1)
	v_mul_hi_u32 v6, v4, v6
	v_mul_lo_u32 v7, v6, s10
	s_delay_alu instid0(VALU_DEP_1) | instskip(NEXT) | instid1(VALU_DEP_1)
	v_dual_add_nc_u32 v8, 1, v6 :: v_dual_sub_nc_u32 v7, v4, v7
	v_subrev_nc_u32_e32 v9, s10, v7
	v_cmp_le_u32_e32 vcc_lo, s10, v7
	s_delay_alu instid0(VALU_DEP_2) | instskip(NEXT) | instid1(VALU_DEP_4)
	v_dual_cndmask_b32 v7, v7, v9, vcc_lo :: v_dual_mov_b32 v9, 0
	v_cndmask_b32_e32 v6, v6, v8, vcc_lo
	s_delay_alu instid0(VALU_DEP_2) | instskip(NEXT) | instid1(VALU_DEP_2)
	v_cmp_le_u32_e32 vcc_lo, s10, v7
	v_add_nc_u32_e32 v8, 1, v6
	s_delay_alu instid0(VALU_DEP_1)
	v_cndmask_b32_e32 v8, v6, v8, vcc_lo
.LBB37_9:
	s_or_b32 exec_lo, exec_lo, s0
	s_delay_alu instid0(VALU_DEP_1) | instskip(SKIP_1) | instid1(VALU_DEP_1)
	v_mul_u64_e32 v[6:7], s[10:11], v[8:9]
	v_mad_nc_u64_u32 v[8:9], v2, s6, v[8:9]
	v_mad_u32 v3, v3, s6, v9
	s_delay_alu instid0(VALU_DEP_1) | instskip(NEXT) | instid1(VALU_DEP_4)
	v_mad_u32 v2, v2, s7, v3
	v_sub_nc_u64_e32 v[4:5], v[4:5], v[6:7]
	s_delay_alu instid0(VALU_DEP_1) | instskip(NEXT) | instid1(VALU_DEP_1)
	v_mad_nc_u64_u32 v[4:5], v8, s4, v[4:5]
	v_mad_u32 v2, v2, s4, v5
	s_delay_alu instid0(VALU_DEP_2) | instskip(NEXT) | instid1(VALU_DEP_2)
	v_cvt_f64_u32_e32 v[6:7], v4
	v_mad_u32 v5, v8, s5, v2
                                        ; implicit-def: $vgpr8
	s_delay_alu instid0(VALU_DEP_1) | instskip(SKIP_1) | instid1(VALU_DEP_2)
	v_cvt_f64_u32_e32 v[2:3], v5
	v_cmp_lt_u64_e32 vcc_lo, 0x3fffffff, v[4:5]
                                        ; implicit-def: $vgpr4_vgpr5
	v_ldexp_f64 v[2:3], v[2:3], 32
	s_delay_alu instid0(VALU_DEP_1) | instskip(SKIP_1) | instid1(SALU_CYCLE_1)
	v_add_f64_e32 v[2:3], v[2:3], v[6:7]
                                        ; implicit-def: $vgpr6_vgpr7
	s_and_saveexec_b32 s0, vcc_lo
	s_xor_b32 s0, exec_lo, s0
	s_cbranch_execz .LBB37_11
; %bb.10:
	s_delay_alu instid0(VALU_DEP_1) | instskip(SKIP_3) | instid1(VALU_DEP_3)
	v_trig_preop_f64 v[4:5], v[2:3], 0
	v_trig_preop_f64 v[6:7], v[2:3], 1
	;; [unrolled: 1-line block ×3, first 2 shown]
	s_mov_b64 s[2:3], 0x3ff921fb54442d18
	v_dual_mul_f64 v[8:9], v[4:5], v[2:3] :: v_dual_mov_b32 v24, 0
	s_delay_alu instid0(VALU_DEP_3) | instskip(NEXT) | instid1(VALU_DEP_3)
	v_mul_f64_e32 v[10:11], v[6:7], v[2:3]
	v_mul_f64_e32 v[22:23], v[16:17], v[2:3]
	s_delay_alu instid0(VALU_DEP_3) | instskip(NEXT) | instid1(VALU_DEP_3)
	v_fma_f64 v[4:5], v[4:5], v[2:3], -v[8:9]
	v_fma_f64 v[6:7], v[6:7], v[2:3], -v[10:11]
	s_delay_alu instid0(VALU_DEP_3) | instskip(NEXT) | instid1(VALU_DEP_3)
	v_fma_f64 v[2:3], v[16:17], v[2:3], -v[22:23]
	v_add_f64_e32 v[12:13], v[10:11], v[4:5]
	s_delay_alu instid0(VALU_DEP_1) | instskip(SKIP_1) | instid1(VALU_DEP_2)
	v_add_f64_e64 v[14:15], v[12:13], -v[10:11]
	v_add_f64_e32 v[20:21], v[8:9], v[12:13]
	v_add_f64_e64 v[18:19], v[12:13], -v[14:15]
	v_add_f64_e64 v[4:5], v[4:5], -v[14:15]
	s_delay_alu instid0(VALU_DEP_3) | instskip(NEXT) | instid1(VALU_DEP_3)
	v_ldexp_f64 v[14:15], v[20:21], -2
	v_add_f64_e64 v[10:11], v[10:11], -v[18:19]
	v_add_f64_e32 v[18:19], v[22:23], v[6:7]
	s_delay_alu instid0(VALU_DEP_3) | instskip(NEXT) | instid1(VALU_DEP_3)
	v_cmp_neq_f64_e64 vcc_lo, 0x7ff00000, |v[14:15]|
	v_add_f64_e32 v[4:5], v[4:5], v[10:11]
	v_fract_f64_e32 v[10:11], v[14:15]
	s_delay_alu instid0(VALU_DEP_1) | instskip(NEXT) | instid1(VALU_DEP_1)
	v_ldexp_f64 v[10:11], v[10:11], 2
	v_dual_add_f64 v[8:9], v[20:21], -v[8:9] :: v_dual_cndmask_b32 v10, 0, v10, vcc_lo
	s_delay_alu instid0(VALU_DEP_1) | instskip(SKIP_1) | instid1(VALU_DEP_1)
	v_dual_add_f64 v[8:9], v[12:13], -v[8:9] :: v_dual_cndmask_b32 v11, 0, v11, vcc_lo
	v_add_f64_e32 v[12:13], v[18:19], v[4:5]
	v_add_f64_e32 v[14:15], v[8:9], v[12:13]
	v_add_f64_e64 v[26:27], v[12:13], -v[18:19]
	s_delay_alu instid0(VALU_DEP_2) | instskip(NEXT) | instid1(VALU_DEP_2)
	v_add_f64_e32 v[20:21], v[14:15], v[10:11]
	v_add_f64_e64 v[32:33], v[12:13], -v[26:27]
	v_add_f64_e64 v[4:5], v[4:5], -v[26:27]
	;; [unrolled: 1-line block ×3, first 2 shown]
	s_delay_alu instid0(VALU_DEP_4) | instskip(SKIP_1) | instid1(VALU_DEP_3)
	v_cmp_gt_f64_e32 vcc_lo, 0, v[20:21]
	v_add_f64_e64 v[20:21], v[18:19], -v[22:23]
	v_add_f64_e64 v[8:9], v[12:13], -v[8:9]
	v_cndmask_b32_e64 v25, 0, 0x40100000, vcc_lo
	s_delay_alu instid0(VALU_DEP_3) | instskip(SKIP_2) | instid1(VALU_DEP_4)
	v_add_f64_e64 v[30:31], v[18:19], -v[20:21]
	v_add_f64_e64 v[6:7], v[6:7], -v[20:21]
	;; [unrolled: 1-line block ×3, first 2 shown]
	v_add_f64_e32 v[10:11], v[10:11], v[24:25]
	s_delay_alu instid0(VALU_DEP_4) | instskip(NEXT) | instid1(VALU_DEP_3)
	v_add_f64_e64 v[20:21], v[22:23], -v[30:31]
	v_add_f64_e32 v[4:5], v[4:5], v[18:19]
	s_delay_alu instid0(VALU_DEP_3) | instskip(NEXT) | instid1(VALU_DEP_3)
	v_add_f64_e32 v[28:29], v[14:15], v[10:11]
	v_add_f64_e32 v[6:7], v[6:7], v[20:21]
	s_delay_alu instid0(VALU_DEP_2) | instskip(NEXT) | instid1(VALU_DEP_2)
	v_cvt_i32_f64_e32 v25, v[28:29]
	v_add_f64_e32 v[4:5], v[6:7], v[4:5]
	s_delay_alu instid0(VALU_DEP_2) | instskip(NEXT) | instid1(VALU_DEP_2)
	v_cvt_f64_i32_e32 v[26:27], v25
	v_add_f64_e32 v[2:3], v[2:3], v[4:5]
	s_delay_alu instid0(VALU_DEP_2) | instskip(NEXT) | instid1(VALU_DEP_2)
	v_add_f64_e64 v[10:11], v[10:11], -v[26:27]
	v_add_f64_e32 v[2:3], v[8:9], v[2:3]
	s_delay_alu instid0(VALU_DEP_2) | instskip(NEXT) | instid1(VALU_DEP_1)
	v_add_f64_e32 v[6:7], v[14:15], v[10:11]
	v_add_f64_e64 v[4:5], v[6:7], -v[10:11]
	v_cmp_le_f64_e32 vcc_lo, 0.5, v[6:7]
	s_delay_alu instid0(VALU_DEP_2) | instskip(SKIP_2) | instid1(VALU_DEP_3)
	v_add_f64_e64 v[4:5], v[14:15], -v[4:5]
	v_add_co_ci_u32_e64 v8, null, 0, v25, vcc_lo
	v_cndmask_b32_e64 v25, 0, 0x3ff00000, vcc_lo
	v_add_f64_e32 v[2:3], v[2:3], v[4:5]
	s_delay_alu instid0(VALU_DEP_2) | instskip(NEXT) | instid1(VALU_DEP_1)
	v_add_f64_e64 v[4:5], v[6:7], -v[24:25]
	v_add_f64_e32 v[6:7], v[4:5], v[2:3]
	s_delay_alu instid0(VALU_DEP_1) | instskip(SKIP_1) | instid1(VALU_DEP_2)
	v_mul_f64_e32 v[10:11], 0x3ff921fb54442d18, v[6:7]
	v_add_f64_e64 v[4:5], v[6:7], -v[4:5]
	v_fma_f64 v[12:13], v[6:7], s[2:3], -v[10:11]
	s_delay_alu instid0(VALU_DEP_2) | instskip(NEXT) | instid1(VALU_DEP_2)
	v_add_f64_e64 v[2:3], v[2:3], -v[4:5]
	v_fmamk_f64 v[6:7], v[6:7], 0x3c91a62633145c07, v[12:13]
	s_delay_alu instid0(VALU_DEP_1) | instskip(NEXT) | instid1(VALU_DEP_1)
	v_fmac_f64_e32 v[6:7], 0x3ff921fb54442d18, v[2:3]
	v_add_f64_e32 v[4:5], v[10:11], v[6:7]
	s_delay_alu instid0(VALU_DEP_1) | instskip(NEXT) | instid1(VALU_DEP_1)
	v_add_f64_e64 v[2:3], v[4:5], -v[10:11]
	v_add_f64_e64 v[6:7], v[6:7], -v[2:3]
                                        ; implicit-def: $vgpr2_vgpr3
.LBB37_11:
	s_and_not1_saveexec_b32 s0, s0
	s_cbranch_execz .LBB37_13
; %bb.12:
	s_delay_alu instid0(VALU_DEP_1) | instskip(NEXT) | instid1(VALU_DEP_1)
	v_mul_f64_e32 v[4:5], 0x3fe45f306dc9c883, v[2:3]
	v_rndne_f64_e32 v[8:9], v[4:5]
	s_delay_alu instid0(VALU_DEP_1) | instskip(SKIP_1) | instid1(VALU_DEP_1)
	v_mul_f64_e32 v[4:5], 0xbc91a62633145c00, v[8:9]
	v_fmamk_f64 v[2:3], v[8:9], 0xbff921fb54442d18, v[2:3]
	v_add_f64_e32 v[6:7], v[2:3], v[4:5]
	s_delay_alu instid0(VALU_DEP_1) | instskip(SKIP_1) | instid1(VALU_DEP_1)
	v_add_f64_e64 v[10:11], v[2:3], -v[6:7]
	v_fmamk_f64 v[2:3], v[8:9], 0xbc91a62633145c00, v[2:3]
	v_add_f64_e64 v[6:7], v[6:7], -v[2:3]
	s_delay_alu instid0(VALU_DEP_3) | instskip(SKIP_1) | instid1(VALU_DEP_2)
	v_add_f64_e32 v[10:11], v[10:11], v[4:5]
	v_fmamk_f64 v[4:5], v[8:9], 0x3c91a62633145c00, v[4:5]
	v_add_f64_e32 v[6:7], v[6:7], v[10:11]
	s_delay_alu instid0(VALU_DEP_1) | instskip(NEXT) | instid1(VALU_DEP_1)
	v_add_f64_e64 v[4:5], v[6:7], -v[4:5]
	v_fmamk_f64 v[6:7], v[8:9], 0xb97b839a252049c0, v[4:5]
	v_cvt_i32_f64_e32 v8, v[8:9]
	s_delay_alu instid0(VALU_DEP_2) | instskip(NEXT) | instid1(VALU_DEP_1)
	v_add_f64_e32 v[4:5], v[2:3], v[6:7]
	v_add_f64_e64 v[2:3], v[4:5], -v[2:3]
	s_delay_alu instid0(VALU_DEP_1)
	v_add_f64_e64 v[6:7], v[6:7], -v[2:3]
.LBB37_13:
	s_or_b32 exec_lo, exec_lo, s0
	v_mul_f64_e32 v[2:3], v[4:5], v[4:5]
	s_delay_alu instid0(VALU_DEP_2) | instskip(SKIP_1) | instid1(VALU_DEP_2)
	v_mul_f64_e32 v[16:17], 0.5, v[6:7]
	s_mov_b64 s[0:1], 0x3de5e0b2f9a43bb8
	v_mul_f64_e32 v[10:11], 0.5, v[2:3]
	v_mul_f64_e64 v[18:19], v[4:5], -v[2:3]
	v_fmaak_f64 v[20:21], s[0:1], v[2:3], 0xbe5ae600b42fdfa7
	s_mov_b64 s[0:1], 0xbda907db46cc5e42
	s_delay_alu instid0(VALU_DEP_1) | instskip(NEXT) | instid1(VALU_DEP_4)
	v_fmaak_f64 v[20:21], v[2:3], v[20:21], 0x3ec71de3796cde01
	v_add_f64_e64 v[12:13], -v[10:11], 1.0
	s_delay_alu instid0(VALU_DEP_1) | instskip(NEXT) | instid1(VALU_DEP_1)
	v_add_f64_e64 v[14:15], -v[12:13], 1.0
	v_add_f64_e64 v[10:11], v[14:15], -v[10:11]
	s_delay_alu instid0(VALU_DEP_4) | instskip(SKIP_1) | instid1(VALU_DEP_2)
	v_fmaak_f64 v[14:15], v[2:3], v[20:21], 0xbf2a01a019e83e5c
	v_mul_f64_e32 v[20:21], v[2:3], v[2:3]
	v_fmaak_f64 v[14:15], v[2:3], v[14:15], 0x3f81111111110bb3
	s_delay_alu instid0(VALU_DEP_1) | instskip(SKIP_1) | instid1(VALU_DEP_1)
	v_fmac_f64_e32 v[16:17], v[18:19], v[14:15]
	v_fmaak_f64 v[14:15], s[0:1], v[2:3], 0x3e21eeb69037ab78
	v_fmaak_f64 v[14:15], v[2:3], v[14:15], 0xbe927e4fa17f65f6
	s_delay_alu instid0(VALU_DEP_1) | instskip(SKIP_1) | instid1(VALU_DEP_2)
	v_fmaak_f64 v[14:15], v[2:3], v[14:15], 0x3efa01a019f4ec90
	v_fma_f64 v[10:11], v[4:5], -v[6:7], v[10:11]
	v_fmaak_f64 v[14:15], v[2:3], v[14:15], 0xbf56c16c16c16967
	v_fma_f64 v[6:7], v[2:3], v[16:17], -v[6:7]
	s_delay_alu instid0(VALU_DEP_2) | instskip(NEXT) | instid1(VALU_DEP_1)
	v_fmaak_f64 v[2:3], v[2:3], v[14:15], 0x3fa5555555555555
	v_fmac_f64_e32 v[10:11], v[20:21], v[2:3]
	s_delay_alu instid0(VALU_DEP_3) | instskip(SKIP_1) | instid1(VALU_DEP_1)
	v_fmamk_f64 v[2:3], v[18:19], 0xbfc5555555555555, v[6:7]
	v_and_b32_e32 v6, 1, v8
	v_cmp_eq_u32_e32 vcc_lo, 0, v6
	s_delay_alu instid0(VALU_DEP_3) | instskip(SKIP_1) | instid1(VALU_DEP_2)
	v_add_f64_e64 v[2:3], v[4:5], -v[2:3]
	v_add_f64_e32 v[4:5], v[12:13], v[10:11]
	v_xor_b32_e32 v3, 0x80000000, v3
	s_delay_alu instid0(VALU_DEP_1) | instskip(SKIP_1) | instid1(VALU_DEP_1)
	v_dual_cndmask_b32 v2, v2, v4 :: v_dual_cndmask_b32 v3, v3, v5
	v_lshlrev_b32_e32 v4, 30, v8
	v_bitop3_b32 v3, v3, v4, 0x80000000 bitop3:0x78
	s_delay_alu instid0(VALU_DEP_1) | instskip(NEXT) | instid1(VALU_DEP_1)
	v_cvt_f32_f64_e32 v2, v[2:3]
	v_and_b32_e32 v3, 0x7f800000, v2
	s_delay_alu instid0(VALU_DEP_1) | instskip(SKIP_1) | instid1(SALU_CYCLE_1)
	v_cmp_ne_u32_e32 vcc_lo, 0x7f800000, v3
                                        ; implicit-def: $vgpr3
	s_and_saveexec_b32 s0, vcc_lo
	s_xor_b32 s0, exec_lo, s0
; %bb.14:
	v_bfe_u32 v3, v2, 16, 1
	s_delay_alu instid0(VALU_DEP_1)
	v_add3_u32 v3, v2, v3, 0x7fff
                                        ; implicit-def: $vgpr2
; %bb.15:
	s_and_not1_saveexec_b32 s0, s0
; %bb.16:
	v_and_b32_e32 v3, 0xffff, v2
	v_or_b32_e32 v4, 0x10000, v2
	s_delay_alu instid0(VALU_DEP_2) | instskip(NEXT) | instid1(VALU_DEP_2)
	v_cmp_eq_u32_e32 vcc_lo, 0, v3
	v_cndmask_b32_e32 v3, v4, v2, vcc_lo
; %bb.17:
	s_or_b32 exec_lo, exec_lo, s0
	v_lshl_add_u64 v[0:1], v[0:1], 1, s[12:13]
	global_store_d16_hi_b16 v[0:1], v3, off
.LBB37_18:
	s_endpgm
	.section	.rodata,"a",@progbits
	.p2align	6, 0x0
	.amdhsa_kernel _Z11fill_kernelI12hip_bfloat16Z21hipblaslt_init_deviceIS0_Ev8ABC_dims24hipblaslt_initializationbPT_mmmmmEUlmE3_EvS5_mmT0_
		.amdhsa_group_segment_fixed_size 0
		.amdhsa_private_segment_fixed_size 0
		.amdhsa_kernarg_size 312
		.amdhsa_user_sgpr_count 2
		.amdhsa_user_sgpr_dispatch_ptr 0
		.amdhsa_user_sgpr_queue_ptr 0
		.amdhsa_user_sgpr_kernarg_segment_ptr 1
		.amdhsa_user_sgpr_dispatch_id 0
		.amdhsa_user_sgpr_kernarg_preload_length 0
		.amdhsa_user_sgpr_kernarg_preload_offset 0
		.amdhsa_user_sgpr_private_segment_size 0
		.amdhsa_wavefront_size32 1
		.amdhsa_uses_dynamic_stack 0
		.amdhsa_enable_private_segment 0
		.amdhsa_system_sgpr_workgroup_id_x 1
		.amdhsa_system_sgpr_workgroup_id_y 0
		.amdhsa_system_sgpr_workgroup_id_z 0
		.amdhsa_system_sgpr_workgroup_info 0
		.amdhsa_system_vgpr_workitem_id 0
		.amdhsa_next_free_vgpr 34
		.amdhsa_next_free_sgpr 24
		.amdhsa_named_barrier_count 0
		.amdhsa_reserve_vcc 1
		.amdhsa_float_round_mode_32 0
		.amdhsa_float_round_mode_16_64 0
		.amdhsa_float_denorm_mode_32 3
		.amdhsa_float_denorm_mode_16_64 3
		.amdhsa_fp16_overflow 0
		.amdhsa_memory_ordered 1
		.amdhsa_forward_progress 1
		.amdhsa_inst_pref_size 23
		.amdhsa_round_robin_scheduling 0
		.amdhsa_exception_fp_ieee_invalid_op 0
		.amdhsa_exception_fp_denorm_src 0
		.amdhsa_exception_fp_ieee_div_zero 0
		.amdhsa_exception_fp_ieee_overflow 0
		.amdhsa_exception_fp_ieee_underflow 0
		.amdhsa_exception_fp_ieee_inexact 0
		.amdhsa_exception_int_div_zero 0
	.end_amdhsa_kernel
	.section	.text._Z11fill_kernelI12hip_bfloat16Z21hipblaslt_init_deviceIS0_Ev8ABC_dims24hipblaslt_initializationbPT_mmmmmEUlmE3_EvS5_mmT0_,"axG",@progbits,_Z11fill_kernelI12hip_bfloat16Z21hipblaslt_init_deviceIS0_Ev8ABC_dims24hipblaslt_initializationbPT_mmmmmEUlmE3_EvS5_mmT0_,comdat
.Lfunc_end37:
	.size	_Z11fill_kernelI12hip_bfloat16Z21hipblaslt_init_deviceIS0_Ev8ABC_dims24hipblaslt_initializationbPT_mmmmmEUlmE3_EvS5_mmT0_, .Lfunc_end37-_Z11fill_kernelI12hip_bfloat16Z21hipblaslt_init_deviceIS0_Ev8ABC_dims24hipblaslt_initializationbPT_mmmmmEUlmE3_EvS5_mmT0_
                                        ; -- End function
	.set _Z11fill_kernelI12hip_bfloat16Z21hipblaslt_init_deviceIS0_Ev8ABC_dims24hipblaslt_initializationbPT_mmmmmEUlmE3_EvS5_mmT0_.num_vgpr, 34
	.set _Z11fill_kernelI12hip_bfloat16Z21hipblaslt_init_deviceIS0_Ev8ABC_dims24hipblaslt_initializationbPT_mmmmmEUlmE3_EvS5_mmT0_.num_agpr, 0
	.set _Z11fill_kernelI12hip_bfloat16Z21hipblaslt_init_deviceIS0_Ev8ABC_dims24hipblaslt_initializationbPT_mmmmmEUlmE3_EvS5_mmT0_.numbered_sgpr, 24
	.set _Z11fill_kernelI12hip_bfloat16Z21hipblaslt_init_deviceIS0_Ev8ABC_dims24hipblaslt_initializationbPT_mmmmmEUlmE3_EvS5_mmT0_.num_named_barrier, 0
	.set _Z11fill_kernelI12hip_bfloat16Z21hipblaslt_init_deviceIS0_Ev8ABC_dims24hipblaslt_initializationbPT_mmmmmEUlmE3_EvS5_mmT0_.private_seg_size, 0
	.set _Z11fill_kernelI12hip_bfloat16Z21hipblaslt_init_deviceIS0_Ev8ABC_dims24hipblaslt_initializationbPT_mmmmmEUlmE3_EvS5_mmT0_.uses_vcc, 1
	.set _Z11fill_kernelI12hip_bfloat16Z21hipblaslt_init_deviceIS0_Ev8ABC_dims24hipblaslt_initializationbPT_mmmmmEUlmE3_EvS5_mmT0_.uses_flat_scratch, 0
	.set _Z11fill_kernelI12hip_bfloat16Z21hipblaslt_init_deviceIS0_Ev8ABC_dims24hipblaslt_initializationbPT_mmmmmEUlmE3_EvS5_mmT0_.has_dyn_sized_stack, 0
	.set _Z11fill_kernelI12hip_bfloat16Z21hipblaslt_init_deviceIS0_Ev8ABC_dims24hipblaslt_initializationbPT_mmmmmEUlmE3_EvS5_mmT0_.has_recursion, 0
	.set _Z11fill_kernelI12hip_bfloat16Z21hipblaslt_init_deviceIS0_Ev8ABC_dims24hipblaslt_initializationbPT_mmmmmEUlmE3_EvS5_mmT0_.has_indirect_call, 0
	.section	.AMDGPU.csdata,"",@progbits
; Kernel info:
; codeLenInByte = 2840
; TotalNumSgprs: 26
; NumVgprs: 34
; ScratchSize: 0
; MemoryBound: 0
; FloatMode: 240
; IeeeMode: 1
; LDSByteSize: 0 bytes/workgroup (compile time only)
; SGPRBlocks: 0
; VGPRBlocks: 2
; NumSGPRsForWavesPerEU: 26
; NumVGPRsForWavesPerEU: 34
; NamedBarCnt: 0
; Occupancy: 16
; WaveLimiterHint : 0
; COMPUTE_PGM_RSRC2:SCRATCH_EN: 0
; COMPUTE_PGM_RSRC2:USER_SGPR: 2
; COMPUTE_PGM_RSRC2:TRAP_HANDLER: 0
; COMPUTE_PGM_RSRC2:TGID_X_EN: 1
; COMPUTE_PGM_RSRC2:TGID_Y_EN: 0
; COMPUTE_PGM_RSRC2:TGID_Z_EN: 0
; COMPUTE_PGM_RSRC2:TIDIG_COMP_CNT: 0
	.section	.text._Z11fill_kernelI12hip_bfloat16Z21hipblaslt_init_deviceIS0_Ev8ABC_dims24hipblaslt_initializationbPT_mmmmmEUlmE4_EvS5_mmT0_,"axG",@progbits,_Z11fill_kernelI12hip_bfloat16Z21hipblaslt_init_deviceIS0_Ev8ABC_dims24hipblaslt_initializationbPT_mmmmmEUlmE4_EvS5_mmT0_,comdat
	.protected	_Z11fill_kernelI12hip_bfloat16Z21hipblaslt_init_deviceIS0_Ev8ABC_dims24hipblaslt_initializationbPT_mmmmmEUlmE4_EvS5_mmT0_ ; -- Begin function _Z11fill_kernelI12hip_bfloat16Z21hipblaslt_init_deviceIS0_Ev8ABC_dims24hipblaslt_initializationbPT_mmmmmEUlmE4_EvS5_mmT0_
	.globl	_Z11fill_kernelI12hip_bfloat16Z21hipblaslt_init_deviceIS0_Ev8ABC_dims24hipblaslt_initializationbPT_mmmmmEUlmE4_EvS5_mmT0_
	.p2align	8
	.type	_Z11fill_kernelI12hip_bfloat16Z21hipblaslt_init_deviceIS0_Ev8ABC_dims24hipblaslt_initializationbPT_mmmmmEUlmE4_EvS5_mmT0_,@function
_Z11fill_kernelI12hip_bfloat16Z21hipblaslt_init_deviceIS0_Ev8ABC_dims24hipblaslt_initializationbPT_mmmmmEUlmE4_EvS5_mmT0_: ; @_Z11fill_kernelI12hip_bfloat16Z21hipblaslt_init_deviceIS0_Ev8ABC_dims24hipblaslt_initializationbPT_mmmmmEUlmE4_EvS5_mmT0_
; %bb.0:
	s_clause 0x1
	s_load_b32 s2, s[0:1], 0x2c
	s_load_b128 s[4:7], s[0:1], 0x0
	s_bfe_u32 s3, ttmp6, 0x4000c
	s_and_b32 s8, ttmp6, 15
	s_add_co_i32 s3, s3, 1
	s_getreg_b32 s9, hwreg(HW_REG_IB_STS2, 6, 4)
	s_mul_i32 s3, ttmp9, s3
	v_mov_b32_e32 v1, 0
	s_add_co_i32 s8, s8, s3
	s_wait_kmcnt 0x0
	s_and_b32 s2, s2, 0xffff
	s_cmp_eq_u32 s9, 0
	s_cselect_b32 s3, ttmp9, s8
	s_delay_alu instid0(SALU_CYCLE_1) | instskip(SKIP_1) | instid1(VALU_DEP_1)
	v_mad_u32 v0, s3, s2, v0
	s_mov_b32 s2, exec_lo
	v_cmpx_gt_u64_e64 s[6:7], v[0:1]
	s_cbranch_execz .LBB38_6
; %bb.1:
	s_load_b64 s[0:1], s[0:1], 0x10
	s_wait_kmcnt 0x0
	v_add_nc_u64_e32 v[0:1], s[0:1], v[0:1]
	s_mov_b32 s0, 0x19660d
	s_delay_alu instid0(VALU_DEP_1) | instid1(SALU_CYCLE_1)
	v_mad_nc_u64_u32 v[2:3], v0, s0, 0x3c6ef35f
	s_mov_b64 s[0:1], 0x41efffffffe00000
	s_delay_alu instid0(VALU_DEP_1) | instskip(NEXT) | instid1(VALU_DEP_1)
	v_mad_u32 v3, 0x19660d, v1, v3
	v_lshlrev_b64_e32 v[4:5], 13, v[2:3]
	s_delay_alu instid0(VALU_DEP_1) | instskip(NEXT) | instid1(VALU_DEP_2)
	v_xor_b32_e32 v3, v5, v3
	v_xor_b32_e32 v2, v4, v2
	s_delay_alu instid0(VALU_DEP_1) | instskip(NEXT) | instid1(VALU_DEP_1)
	v_lshrrev_b64 v[4:5], 17, v[2:3]
	v_xor_b32_e32 v3, v5, v3
	s_delay_alu instid0(VALU_DEP_2) | instskip(NEXT) | instid1(VALU_DEP_1)
	v_xor_b32_e32 v2, v4, v2
	v_lshlrev_b64_e32 v[4:5], 5, v[2:3]
	s_delay_alu instid0(VALU_DEP_1) | instskip(NEXT) | instid1(VALU_DEP_2)
	v_xor_b32_e32 v3, v5, v3
	v_xor_b32_e32 v2, v4, v2
	s_delay_alu instid0(VALU_DEP_1) | instskip(NEXT) | instid1(VALU_DEP_1)
	v_lshlrev_b64_e32 v[4:5], 13, v[2:3]
	v_xor_b32_e32 v3, v5, v3
	s_delay_alu instid0(VALU_DEP_2) | instskip(NEXT) | instid1(VALU_DEP_1)
	v_xor_b32_e32 v2, v4, v2
	v_lshrrev_b64 v[4:5], 17, v[2:3]
	s_delay_alu instid0(VALU_DEP_1) | instskip(NEXT) | instid1(VALU_DEP_2)
	v_xor_b32_e32 v3, v5, v3
	v_xor_b32_e32 v2, v4, v2
	s_delay_alu instid0(VALU_DEP_1) | instskip(NEXT) | instid1(VALU_DEP_1)
	v_lshlrev_b64_e32 v[4:5], 5, v[2:3]
	v_xor_b32_e32 v3, v5, v3
	s_delay_alu instid0(VALU_DEP_2) | instskip(NEXT) | instid1(VALU_DEP_1)
	v_xor_b32_e32 v2, v4, v2
	v_lshlrev_b64_e32 v[4:5], 13, v[2:3]
	s_delay_alu instid0(VALU_DEP_1) | instskip(NEXT) | instid1(VALU_DEP_2)
	v_xor_b32_e32 v3, v5, v3
	v_xor_b32_e32 v2, v4, v2
	s_delay_alu instid0(VALU_DEP_1) | instskip(NEXT) | instid1(VALU_DEP_1)
	v_alignbit_b32 v3, v3, v2, 17
	v_xor_b32_e32 v2, v3, v2
	s_delay_alu instid0(VALU_DEP_1) | instskip(NEXT) | instid1(VALU_DEP_1)
	v_lshlrev_b32_e32 v3, 5, v2
	v_xor_b32_e32 v2, v3, v2
	s_delay_alu instid0(VALU_DEP_1) | instskip(NEXT) | instid1(VALU_DEP_1)
	v_cvt_f64_u32_e32 v[2:3], v2
	v_div_scale_f64 v[4:5], null, s[0:1], s[0:1], v[2:3]
	s_delay_alu instid0(VALU_DEP_1) | instskip(SKIP_1) | instid1(TRANS32_DEP_1)
	v_rcp_f64_e32 v[6:7], v[4:5]
	v_nop
	v_fma_f64 v[8:9], -v[4:5], v[6:7], 1.0
	s_delay_alu instid0(VALU_DEP_1) | instskip(NEXT) | instid1(VALU_DEP_1)
	v_fmac_f64_e32 v[6:7], v[6:7], v[8:9]
	v_fma_f64 v[8:9], -v[4:5], v[6:7], 1.0
	s_delay_alu instid0(VALU_DEP_1) | instskip(SKIP_1) | instid1(VALU_DEP_1)
	v_fmac_f64_e32 v[6:7], v[6:7], v[8:9]
	v_div_scale_f64 v[8:9], vcc_lo, v[2:3], s[0:1], v[2:3]
	v_mul_f64_e32 v[10:11], v[8:9], v[6:7]
	s_delay_alu instid0(VALU_DEP_1) | instskip(NEXT) | instid1(VALU_DEP_1)
	v_fma_f64 v[4:5], -v[4:5], v[10:11], v[8:9]
	v_div_fmas_f64 v[4:5], v[4:5], v[6:7], v[10:11]
	s_delay_alu instid0(VALU_DEP_1) | instskip(NEXT) | instid1(VALU_DEP_1)
	v_div_fixup_f64 v[2:3], v[4:5], s[0:1], v[2:3]
	v_add_f64_e32 v[2:3], -0.5, v[2:3]
	s_delay_alu instid0(VALU_DEP_1) | instskip(NEXT) | instid1(VALU_DEP_1)
	v_cvt_f32_f64_e32 v3, v[2:3]
	v_and_b32_e32 v2, 0x7f800000, v3
	s_delay_alu instid0(VALU_DEP_1) | instskip(SKIP_1) | instid1(SALU_CYCLE_1)
	v_cmp_ne_u32_e32 vcc_lo, 0x7f800000, v2
                                        ; implicit-def: $vgpr2
	s_and_saveexec_b32 s0, vcc_lo
	s_xor_b32 s0, exec_lo, s0
; %bb.2:
	v_bfe_u32 v2, v3, 16, 1
	s_delay_alu instid0(VALU_DEP_1)
	v_add3_u32 v2, v3, v2, 0x7fff
                                        ; implicit-def: $vgpr3
; %bb.3:
	s_and_not1_saveexec_b32 s0, s0
; %bb.4:
	v_and_b32_e32 v2, 0xffff, v3
	v_or_b32_e32 v4, 0x10000, v3
	s_delay_alu instid0(VALU_DEP_2) | instskip(NEXT) | instid1(VALU_DEP_2)
	v_cmp_eq_u32_e32 vcc_lo, 0, v2
	v_cndmask_b32_e32 v2, v4, v3, vcc_lo
; %bb.5:
	s_or_b32 exec_lo, exec_lo, s0
	v_lshl_add_u64 v[0:1], v[0:1], 1, s[4:5]
	global_store_d16_hi_b16 v[0:1], v2, off
.LBB38_6:
	s_endpgm
	.section	.rodata,"a",@progbits
	.p2align	6, 0x0
	.amdhsa_kernel _Z11fill_kernelI12hip_bfloat16Z21hipblaslt_init_deviceIS0_Ev8ABC_dims24hipblaslt_initializationbPT_mmmmmEUlmE4_EvS5_mmT0_
		.amdhsa_group_segment_fixed_size 0
		.amdhsa_private_segment_fixed_size 0
		.amdhsa_kernarg_size 288
		.amdhsa_user_sgpr_count 2
		.amdhsa_user_sgpr_dispatch_ptr 0
		.amdhsa_user_sgpr_queue_ptr 0
		.amdhsa_user_sgpr_kernarg_segment_ptr 1
		.amdhsa_user_sgpr_dispatch_id 0
		.amdhsa_user_sgpr_kernarg_preload_length 0
		.amdhsa_user_sgpr_kernarg_preload_offset 0
		.amdhsa_user_sgpr_private_segment_size 0
		.amdhsa_wavefront_size32 1
		.amdhsa_uses_dynamic_stack 0
		.amdhsa_enable_private_segment 0
		.amdhsa_system_sgpr_workgroup_id_x 1
		.amdhsa_system_sgpr_workgroup_id_y 0
		.amdhsa_system_sgpr_workgroup_id_z 0
		.amdhsa_system_sgpr_workgroup_info 0
		.amdhsa_system_vgpr_workitem_id 0
		.amdhsa_next_free_vgpr 12
		.amdhsa_next_free_sgpr 10
		.amdhsa_named_barrier_count 0
		.amdhsa_reserve_vcc 1
		.amdhsa_float_round_mode_32 0
		.amdhsa_float_round_mode_16_64 0
		.amdhsa_float_denorm_mode_32 3
		.amdhsa_float_denorm_mode_16_64 3
		.amdhsa_fp16_overflow 0
		.amdhsa_memory_ordered 1
		.amdhsa_forward_progress 1
		.amdhsa_inst_pref_size 5
		.amdhsa_round_robin_scheduling 0
		.amdhsa_exception_fp_ieee_invalid_op 0
		.amdhsa_exception_fp_denorm_src 0
		.amdhsa_exception_fp_ieee_div_zero 0
		.amdhsa_exception_fp_ieee_overflow 0
		.amdhsa_exception_fp_ieee_underflow 0
		.amdhsa_exception_fp_ieee_inexact 0
		.amdhsa_exception_int_div_zero 0
	.end_amdhsa_kernel
	.section	.text._Z11fill_kernelI12hip_bfloat16Z21hipblaslt_init_deviceIS0_Ev8ABC_dims24hipblaslt_initializationbPT_mmmmmEUlmE4_EvS5_mmT0_,"axG",@progbits,_Z11fill_kernelI12hip_bfloat16Z21hipblaslt_init_deviceIS0_Ev8ABC_dims24hipblaslt_initializationbPT_mmmmmEUlmE4_EvS5_mmT0_,comdat
.Lfunc_end38:
	.size	_Z11fill_kernelI12hip_bfloat16Z21hipblaslt_init_deviceIS0_Ev8ABC_dims24hipblaslt_initializationbPT_mmmmmEUlmE4_EvS5_mmT0_, .Lfunc_end38-_Z11fill_kernelI12hip_bfloat16Z21hipblaslt_init_deviceIS0_Ev8ABC_dims24hipblaslt_initializationbPT_mmmmmEUlmE4_EvS5_mmT0_
                                        ; -- End function
	.set _Z11fill_kernelI12hip_bfloat16Z21hipblaslt_init_deviceIS0_Ev8ABC_dims24hipblaslt_initializationbPT_mmmmmEUlmE4_EvS5_mmT0_.num_vgpr, 12
	.set _Z11fill_kernelI12hip_bfloat16Z21hipblaslt_init_deviceIS0_Ev8ABC_dims24hipblaslt_initializationbPT_mmmmmEUlmE4_EvS5_mmT0_.num_agpr, 0
	.set _Z11fill_kernelI12hip_bfloat16Z21hipblaslt_init_deviceIS0_Ev8ABC_dims24hipblaslt_initializationbPT_mmmmmEUlmE4_EvS5_mmT0_.numbered_sgpr, 10
	.set _Z11fill_kernelI12hip_bfloat16Z21hipblaslt_init_deviceIS0_Ev8ABC_dims24hipblaslt_initializationbPT_mmmmmEUlmE4_EvS5_mmT0_.num_named_barrier, 0
	.set _Z11fill_kernelI12hip_bfloat16Z21hipblaslt_init_deviceIS0_Ev8ABC_dims24hipblaslt_initializationbPT_mmmmmEUlmE4_EvS5_mmT0_.private_seg_size, 0
	.set _Z11fill_kernelI12hip_bfloat16Z21hipblaslt_init_deviceIS0_Ev8ABC_dims24hipblaslt_initializationbPT_mmmmmEUlmE4_EvS5_mmT0_.uses_vcc, 1
	.set _Z11fill_kernelI12hip_bfloat16Z21hipblaslt_init_deviceIS0_Ev8ABC_dims24hipblaslt_initializationbPT_mmmmmEUlmE4_EvS5_mmT0_.uses_flat_scratch, 0
	.set _Z11fill_kernelI12hip_bfloat16Z21hipblaslt_init_deviceIS0_Ev8ABC_dims24hipblaslt_initializationbPT_mmmmmEUlmE4_EvS5_mmT0_.has_dyn_sized_stack, 0
	.set _Z11fill_kernelI12hip_bfloat16Z21hipblaslt_init_deviceIS0_Ev8ABC_dims24hipblaslt_initializationbPT_mmmmmEUlmE4_EvS5_mmT0_.has_recursion, 0
	.set _Z11fill_kernelI12hip_bfloat16Z21hipblaslt_init_deviceIS0_Ev8ABC_dims24hipblaslt_initializationbPT_mmmmmEUlmE4_EvS5_mmT0_.has_indirect_call, 0
	.section	.AMDGPU.csdata,"",@progbits
; Kernel info:
; codeLenInByte = 556
; TotalNumSgprs: 12
; NumVgprs: 12
; ScratchSize: 0
; MemoryBound: 0
; FloatMode: 240
; IeeeMode: 1
; LDSByteSize: 0 bytes/workgroup (compile time only)
; SGPRBlocks: 0
; VGPRBlocks: 0
; NumSGPRsForWavesPerEU: 12
; NumVGPRsForWavesPerEU: 12
; NamedBarCnt: 0
; Occupancy: 16
; WaveLimiterHint : 0
; COMPUTE_PGM_RSRC2:SCRATCH_EN: 0
; COMPUTE_PGM_RSRC2:USER_SGPR: 2
; COMPUTE_PGM_RSRC2:TRAP_HANDLER: 0
; COMPUTE_PGM_RSRC2:TGID_X_EN: 1
; COMPUTE_PGM_RSRC2:TGID_Y_EN: 0
; COMPUTE_PGM_RSRC2:TGID_Z_EN: 0
; COMPUTE_PGM_RSRC2:TIDIG_COMP_CNT: 0
	.section	.text._Z11fill_kernelI12hip_bfloat16Z21hipblaslt_init_deviceIS0_Ev8ABC_dims24hipblaslt_initializationbPT_mmmmmEUlmE5_EvS5_mmT0_,"axG",@progbits,_Z11fill_kernelI12hip_bfloat16Z21hipblaslt_init_deviceIS0_Ev8ABC_dims24hipblaslt_initializationbPT_mmmmmEUlmE5_EvS5_mmT0_,comdat
	.protected	_Z11fill_kernelI12hip_bfloat16Z21hipblaslt_init_deviceIS0_Ev8ABC_dims24hipblaslt_initializationbPT_mmmmmEUlmE5_EvS5_mmT0_ ; -- Begin function _Z11fill_kernelI12hip_bfloat16Z21hipblaslt_init_deviceIS0_Ev8ABC_dims24hipblaslt_initializationbPT_mmmmmEUlmE5_EvS5_mmT0_
	.globl	_Z11fill_kernelI12hip_bfloat16Z21hipblaslt_init_deviceIS0_Ev8ABC_dims24hipblaslt_initializationbPT_mmmmmEUlmE5_EvS5_mmT0_
	.p2align	8
	.type	_Z11fill_kernelI12hip_bfloat16Z21hipblaslt_init_deviceIS0_Ev8ABC_dims24hipblaslt_initializationbPT_mmmmmEUlmE5_EvS5_mmT0_,@function
_Z11fill_kernelI12hip_bfloat16Z21hipblaslt_init_deviceIS0_Ev8ABC_dims24hipblaslt_initializationbPT_mmmmmEUlmE5_EvS5_mmT0_: ; @_Z11fill_kernelI12hip_bfloat16Z21hipblaslt_init_deviceIS0_Ev8ABC_dims24hipblaslt_initializationbPT_mmmmmEUlmE5_EvS5_mmT0_
; %bb.0:
	s_clause 0x1
	s_load_b32 s2, s[0:1], 0x2c
	s_load_b128 s[4:7], s[0:1], 0x0
	s_bfe_u32 s3, ttmp6, 0x4000c
	s_and_b32 s8, ttmp6, 15
	s_add_co_i32 s3, s3, 1
	s_getreg_b32 s9, hwreg(HW_REG_IB_STS2, 6, 4)
	s_mul_i32 s3, ttmp9, s3
	v_mov_b32_e32 v1, 0
	s_add_co_i32 s8, s8, s3
	s_wait_kmcnt 0x0
	s_and_b32 s2, s2, 0xffff
	s_cmp_eq_u32 s9, 0
	s_cselect_b32 s3, ttmp9, s8
	s_delay_alu instid0(SALU_CYCLE_1) | instskip(SKIP_1) | instid1(VALU_DEP_1)
	v_mad_u32 v0, s3, s2, v0
	s_mov_b32 s2, exec_lo
	v_cmpx_gt_u64_e64 s[6:7], v[0:1]
	s_cbranch_execz .LBB39_2
; %bb.1:
	s_load_b64 s[0:1], s[0:1], 0x10
	v_mov_b32_e32 v2, 0x477f
	s_wait_kmcnt 0x0
	s_lshl_b64 s[0:1], s[0:1], 1
	s_delay_alu instid0(SALU_CYCLE_1) | instskip(NEXT) | instid1(SALU_CYCLE_1)
	s_add_nc_u64 s[0:1], s[4:5], s[0:1]
	v_lshl_add_u64 v[0:1], v[0:1], 1, s[0:1]
	global_store_b16 v[0:1], v2, off
.LBB39_2:
	s_endpgm
	.section	.rodata,"a",@progbits
	.p2align	6, 0x0
	.amdhsa_kernel _Z11fill_kernelI12hip_bfloat16Z21hipblaslt_init_deviceIS0_Ev8ABC_dims24hipblaslt_initializationbPT_mmmmmEUlmE5_EvS5_mmT0_
		.amdhsa_group_segment_fixed_size 0
		.amdhsa_private_segment_fixed_size 0
		.amdhsa_kernarg_size 288
		.amdhsa_user_sgpr_count 2
		.amdhsa_user_sgpr_dispatch_ptr 0
		.amdhsa_user_sgpr_queue_ptr 0
		.amdhsa_user_sgpr_kernarg_segment_ptr 1
		.amdhsa_user_sgpr_dispatch_id 0
		.amdhsa_user_sgpr_kernarg_preload_length 0
		.amdhsa_user_sgpr_kernarg_preload_offset 0
		.amdhsa_user_sgpr_private_segment_size 0
		.amdhsa_wavefront_size32 1
		.amdhsa_uses_dynamic_stack 0
		.amdhsa_enable_private_segment 0
		.amdhsa_system_sgpr_workgroup_id_x 1
		.amdhsa_system_sgpr_workgroup_id_y 0
		.amdhsa_system_sgpr_workgroup_id_z 0
		.amdhsa_system_sgpr_workgroup_info 0
		.amdhsa_system_vgpr_workitem_id 0
		.amdhsa_next_free_vgpr 3
		.amdhsa_next_free_sgpr 10
		.amdhsa_named_barrier_count 0
		.amdhsa_reserve_vcc 0
		.amdhsa_float_round_mode_32 0
		.amdhsa_float_round_mode_16_64 0
		.amdhsa_float_denorm_mode_32 3
		.amdhsa_float_denorm_mode_16_64 3
		.amdhsa_fp16_overflow 0
		.amdhsa_memory_ordered 1
		.amdhsa_forward_progress 1
		.amdhsa_inst_pref_size 2
		.amdhsa_round_robin_scheduling 0
		.amdhsa_exception_fp_ieee_invalid_op 0
		.amdhsa_exception_fp_denorm_src 0
		.amdhsa_exception_fp_ieee_div_zero 0
		.amdhsa_exception_fp_ieee_overflow 0
		.amdhsa_exception_fp_ieee_underflow 0
		.amdhsa_exception_fp_ieee_inexact 0
		.amdhsa_exception_int_div_zero 0
	.end_amdhsa_kernel
	.section	.text._Z11fill_kernelI12hip_bfloat16Z21hipblaslt_init_deviceIS0_Ev8ABC_dims24hipblaslt_initializationbPT_mmmmmEUlmE5_EvS5_mmT0_,"axG",@progbits,_Z11fill_kernelI12hip_bfloat16Z21hipblaslt_init_deviceIS0_Ev8ABC_dims24hipblaslt_initializationbPT_mmmmmEUlmE5_EvS5_mmT0_,comdat
.Lfunc_end39:
	.size	_Z11fill_kernelI12hip_bfloat16Z21hipblaslt_init_deviceIS0_Ev8ABC_dims24hipblaslt_initializationbPT_mmmmmEUlmE5_EvS5_mmT0_, .Lfunc_end39-_Z11fill_kernelI12hip_bfloat16Z21hipblaslt_init_deviceIS0_Ev8ABC_dims24hipblaslt_initializationbPT_mmmmmEUlmE5_EvS5_mmT0_
                                        ; -- End function
	.set _Z11fill_kernelI12hip_bfloat16Z21hipblaslt_init_deviceIS0_Ev8ABC_dims24hipblaslt_initializationbPT_mmmmmEUlmE5_EvS5_mmT0_.num_vgpr, 3
	.set _Z11fill_kernelI12hip_bfloat16Z21hipblaslt_init_deviceIS0_Ev8ABC_dims24hipblaslt_initializationbPT_mmmmmEUlmE5_EvS5_mmT0_.num_agpr, 0
	.set _Z11fill_kernelI12hip_bfloat16Z21hipblaslt_init_deviceIS0_Ev8ABC_dims24hipblaslt_initializationbPT_mmmmmEUlmE5_EvS5_mmT0_.numbered_sgpr, 10
	.set _Z11fill_kernelI12hip_bfloat16Z21hipblaslt_init_deviceIS0_Ev8ABC_dims24hipblaslt_initializationbPT_mmmmmEUlmE5_EvS5_mmT0_.num_named_barrier, 0
	.set _Z11fill_kernelI12hip_bfloat16Z21hipblaslt_init_deviceIS0_Ev8ABC_dims24hipblaslt_initializationbPT_mmmmmEUlmE5_EvS5_mmT0_.private_seg_size, 0
	.set _Z11fill_kernelI12hip_bfloat16Z21hipblaslt_init_deviceIS0_Ev8ABC_dims24hipblaslt_initializationbPT_mmmmmEUlmE5_EvS5_mmT0_.uses_vcc, 0
	.set _Z11fill_kernelI12hip_bfloat16Z21hipblaslt_init_deviceIS0_Ev8ABC_dims24hipblaslt_initializationbPT_mmmmmEUlmE5_EvS5_mmT0_.uses_flat_scratch, 0
	.set _Z11fill_kernelI12hip_bfloat16Z21hipblaslt_init_deviceIS0_Ev8ABC_dims24hipblaslt_initializationbPT_mmmmmEUlmE5_EvS5_mmT0_.has_dyn_sized_stack, 0
	.set _Z11fill_kernelI12hip_bfloat16Z21hipblaslt_init_deviceIS0_Ev8ABC_dims24hipblaslt_initializationbPT_mmmmmEUlmE5_EvS5_mmT0_.has_recursion, 0
	.set _Z11fill_kernelI12hip_bfloat16Z21hipblaslt_init_deviceIS0_Ev8ABC_dims24hipblaslt_initializationbPT_mmmmmEUlmE5_EvS5_mmT0_.has_indirect_call, 0
	.section	.AMDGPU.csdata,"",@progbits
; Kernel info:
; codeLenInByte = 156
; TotalNumSgprs: 10
; NumVgprs: 3
; ScratchSize: 0
; MemoryBound: 0
; FloatMode: 240
; IeeeMode: 1
; LDSByteSize: 0 bytes/workgroup (compile time only)
; SGPRBlocks: 0
; VGPRBlocks: 0
; NumSGPRsForWavesPerEU: 10
; NumVGPRsForWavesPerEU: 3
; NamedBarCnt: 0
; Occupancy: 16
; WaveLimiterHint : 0
; COMPUTE_PGM_RSRC2:SCRATCH_EN: 0
; COMPUTE_PGM_RSRC2:USER_SGPR: 2
; COMPUTE_PGM_RSRC2:TRAP_HANDLER: 0
; COMPUTE_PGM_RSRC2:TGID_X_EN: 1
; COMPUTE_PGM_RSRC2:TGID_Y_EN: 0
; COMPUTE_PGM_RSRC2:TGID_Z_EN: 0
; COMPUTE_PGM_RSRC2:TIDIG_COMP_CNT: 0
	.section	.text._Z11fill_kernelI12hip_bfloat16Z21hipblaslt_init_deviceIS0_Ev8ABC_dims24hipblaslt_initializationbPT_mmmmmEUlmE6_EvS5_mmT0_,"axG",@progbits,_Z11fill_kernelI12hip_bfloat16Z21hipblaslt_init_deviceIS0_Ev8ABC_dims24hipblaslt_initializationbPT_mmmmmEUlmE6_EvS5_mmT0_,comdat
	.protected	_Z11fill_kernelI12hip_bfloat16Z21hipblaslt_init_deviceIS0_Ev8ABC_dims24hipblaslt_initializationbPT_mmmmmEUlmE6_EvS5_mmT0_ ; -- Begin function _Z11fill_kernelI12hip_bfloat16Z21hipblaslt_init_deviceIS0_Ev8ABC_dims24hipblaslt_initializationbPT_mmmmmEUlmE6_EvS5_mmT0_
	.globl	_Z11fill_kernelI12hip_bfloat16Z21hipblaslt_init_deviceIS0_Ev8ABC_dims24hipblaslt_initializationbPT_mmmmmEUlmE6_EvS5_mmT0_
	.p2align	8
	.type	_Z11fill_kernelI12hip_bfloat16Z21hipblaslt_init_deviceIS0_Ev8ABC_dims24hipblaslt_initializationbPT_mmmmmEUlmE6_EvS5_mmT0_,@function
_Z11fill_kernelI12hip_bfloat16Z21hipblaslt_init_deviceIS0_Ev8ABC_dims24hipblaslt_initializationbPT_mmmmmEUlmE6_EvS5_mmT0_: ; @_Z11fill_kernelI12hip_bfloat16Z21hipblaslt_init_deviceIS0_Ev8ABC_dims24hipblaslt_initializationbPT_mmmmmEUlmE6_EvS5_mmT0_
; %bb.0:
	s_clause 0x1
	s_load_b32 s2, s[0:1], 0x2c
	s_load_b128 s[4:7], s[0:1], 0x0
	s_bfe_u32 s3, ttmp6, 0x4000c
	s_and_b32 s8, ttmp6, 15
	s_add_co_i32 s3, s3, 1
	s_getreg_b32 s9, hwreg(HW_REG_IB_STS2, 6, 4)
	s_mul_i32 s3, ttmp9, s3
	v_mov_b32_e32 v1, 0
	s_add_co_i32 s8, s8, s3
	s_wait_kmcnt 0x0
	s_and_b32 s2, s2, 0xffff
	s_cmp_eq_u32 s9, 0
	s_cselect_b32 s3, ttmp9, s8
	s_delay_alu instid0(SALU_CYCLE_1) | instskip(SKIP_1) | instid1(VALU_DEP_1)
	v_mad_u32 v0, s3, s2, v0
	s_mov_b32 s2, exec_lo
	v_cmpx_gt_u64_e64 s[6:7], v[0:1]
	s_cbranch_execz .LBB40_2
; %bb.1:
	s_load_b64 s[0:1], s[0:1], 0x10
	v_mov_b32_e32 v2, 0x387f
	s_wait_kmcnt 0x0
	s_lshl_b64 s[0:1], s[0:1], 1
	s_delay_alu instid0(SALU_CYCLE_1) | instskip(NEXT) | instid1(SALU_CYCLE_1)
	s_add_nc_u64 s[0:1], s[4:5], s[0:1]
	v_lshl_add_u64 v[0:1], v[0:1], 1, s[0:1]
	global_store_b16 v[0:1], v2, off
.LBB40_2:
	s_endpgm
	.section	.rodata,"a",@progbits
	.p2align	6, 0x0
	.amdhsa_kernel _Z11fill_kernelI12hip_bfloat16Z21hipblaslt_init_deviceIS0_Ev8ABC_dims24hipblaslt_initializationbPT_mmmmmEUlmE6_EvS5_mmT0_
		.amdhsa_group_segment_fixed_size 0
		.amdhsa_private_segment_fixed_size 0
		.amdhsa_kernarg_size 288
		.amdhsa_user_sgpr_count 2
		.amdhsa_user_sgpr_dispatch_ptr 0
		.amdhsa_user_sgpr_queue_ptr 0
		.amdhsa_user_sgpr_kernarg_segment_ptr 1
		.amdhsa_user_sgpr_dispatch_id 0
		.amdhsa_user_sgpr_kernarg_preload_length 0
		.amdhsa_user_sgpr_kernarg_preload_offset 0
		.amdhsa_user_sgpr_private_segment_size 0
		.amdhsa_wavefront_size32 1
		.amdhsa_uses_dynamic_stack 0
		.amdhsa_enable_private_segment 0
		.amdhsa_system_sgpr_workgroup_id_x 1
		.amdhsa_system_sgpr_workgroup_id_y 0
		.amdhsa_system_sgpr_workgroup_id_z 0
		.amdhsa_system_sgpr_workgroup_info 0
		.amdhsa_system_vgpr_workitem_id 0
		.amdhsa_next_free_vgpr 3
		.amdhsa_next_free_sgpr 10
		.amdhsa_named_barrier_count 0
		.amdhsa_reserve_vcc 0
		.amdhsa_float_round_mode_32 0
		.amdhsa_float_round_mode_16_64 0
		.amdhsa_float_denorm_mode_32 3
		.amdhsa_float_denorm_mode_16_64 3
		.amdhsa_fp16_overflow 0
		.amdhsa_memory_ordered 1
		.amdhsa_forward_progress 1
		.amdhsa_inst_pref_size 2
		.amdhsa_round_robin_scheduling 0
		.amdhsa_exception_fp_ieee_invalid_op 0
		.amdhsa_exception_fp_denorm_src 0
		.amdhsa_exception_fp_ieee_div_zero 0
		.amdhsa_exception_fp_ieee_overflow 0
		.amdhsa_exception_fp_ieee_underflow 0
		.amdhsa_exception_fp_ieee_inexact 0
		.amdhsa_exception_int_div_zero 0
	.end_amdhsa_kernel
	.section	.text._Z11fill_kernelI12hip_bfloat16Z21hipblaslt_init_deviceIS0_Ev8ABC_dims24hipblaslt_initializationbPT_mmmmmEUlmE6_EvS5_mmT0_,"axG",@progbits,_Z11fill_kernelI12hip_bfloat16Z21hipblaslt_init_deviceIS0_Ev8ABC_dims24hipblaslt_initializationbPT_mmmmmEUlmE6_EvS5_mmT0_,comdat
.Lfunc_end40:
	.size	_Z11fill_kernelI12hip_bfloat16Z21hipblaslt_init_deviceIS0_Ev8ABC_dims24hipblaslt_initializationbPT_mmmmmEUlmE6_EvS5_mmT0_, .Lfunc_end40-_Z11fill_kernelI12hip_bfloat16Z21hipblaslt_init_deviceIS0_Ev8ABC_dims24hipblaslt_initializationbPT_mmmmmEUlmE6_EvS5_mmT0_
                                        ; -- End function
	.set _Z11fill_kernelI12hip_bfloat16Z21hipblaslt_init_deviceIS0_Ev8ABC_dims24hipblaslt_initializationbPT_mmmmmEUlmE6_EvS5_mmT0_.num_vgpr, 3
	.set _Z11fill_kernelI12hip_bfloat16Z21hipblaslt_init_deviceIS0_Ev8ABC_dims24hipblaslt_initializationbPT_mmmmmEUlmE6_EvS5_mmT0_.num_agpr, 0
	.set _Z11fill_kernelI12hip_bfloat16Z21hipblaslt_init_deviceIS0_Ev8ABC_dims24hipblaslt_initializationbPT_mmmmmEUlmE6_EvS5_mmT0_.numbered_sgpr, 10
	.set _Z11fill_kernelI12hip_bfloat16Z21hipblaslt_init_deviceIS0_Ev8ABC_dims24hipblaslt_initializationbPT_mmmmmEUlmE6_EvS5_mmT0_.num_named_barrier, 0
	.set _Z11fill_kernelI12hip_bfloat16Z21hipblaslt_init_deviceIS0_Ev8ABC_dims24hipblaslt_initializationbPT_mmmmmEUlmE6_EvS5_mmT0_.private_seg_size, 0
	.set _Z11fill_kernelI12hip_bfloat16Z21hipblaslt_init_deviceIS0_Ev8ABC_dims24hipblaslt_initializationbPT_mmmmmEUlmE6_EvS5_mmT0_.uses_vcc, 0
	.set _Z11fill_kernelI12hip_bfloat16Z21hipblaslt_init_deviceIS0_Ev8ABC_dims24hipblaslt_initializationbPT_mmmmmEUlmE6_EvS5_mmT0_.uses_flat_scratch, 0
	.set _Z11fill_kernelI12hip_bfloat16Z21hipblaslt_init_deviceIS0_Ev8ABC_dims24hipblaslt_initializationbPT_mmmmmEUlmE6_EvS5_mmT0_.has_dyn_sized_stack, 0
	.set _Z11fill_kernelI12hip_bfloat16Z21hipblaslt_init_deviceIS0_Ev8ABC_dims24hipblaslt_initializationbPT_mmmmmEUlmE6_EvS5_mmT0_.has_recursion, 0
	.set _Z11fill_kernelI12hip_bfloat16Z21hipblaslt_init_deviceIS0_Ev8ABC_dims24hipblaslt_initializationbPT_mmmmmEUlmE6_EvS5_mmT0_.has_indirect_call, 0
	.section	.AMDGPU.csdata,"",@progbits
; Kernel info:
; codeLenInByte = 156
; TotalNumSgprs: 10
; NumVgprs: 3
; ScratchSize: 0
; MemoryBound: 0
; FloatMode: 240
; IeeeMode: 1
; LDSByteSize: 0 bytes/workgroup (compile time only)
; SGPRBlocks: 0
; VGPRBlocks: 0
; NumSGPRsForWavesPerEU: 10
; NumVGPRsForWavesPerEU: 3
; NamedBarCnt: 0
; Occupancy: 16
; WaveLimiterHint : 0
; COMPUTE_PGM_RSRC2:SCRATCH_EN: 0
; COMPUTE_PGM_RSRC2:USER_SGPR: 2
; COMPUTE_PGM_RSRC2:TRAP_HANDLER: 0
; COMPUTE_PGM_RSRC2:TGID_X_EN: 1
; COMPUTE_PGM_RSRC2:TGID_Y_EN: 0
; COMPUTE_PGM_RSRC2:TGID_Z_EN: 0
; COMPUTE_PGM_RSRC2:TIDIG_COMP_CNT: 0
	.section	.text._Z11fill_kernelI12hip_bfloat16Z21hipblaslt_init_deviceIS0_Ev8ABC_dims24hipblaslt_initializationbPT_mmmmmEUlmE7_EvS5_mmT0_,"axG",@progbits,_Z11fill_kernelI12hip_bfloat16Z21hipblaslt_init_deviceIS0_Ev8ABC_dims24hipblaslt_initializationbPT_mmmmmEUlmE7_EvS5_mmT0_,comdat
	.protected	_Z11fill_kernelI12hip_bfloat16Z21hipblaslt_init_deviceIS0_Ev8ABC_dims24hipblaslt_initializationbPT_mmmmmEUlmE7_EvS5_mmT0_ ; -- Begin function _Z11fill_kernelI12hip_bfloat16Z21hipblaslt_init_deviceIS0_Ev8ABC_dims24hipblaslt_initializationbPT_mmmmmEUlmE7_EvS5_mmT0_
	.globl	_Z11fill_kernelI12hip_bfloat16Z21hipblaslt_init_deviceIS0_Ev8ABC_dims24hipblaslt_initializationbPT_mmmmmEUlmE7_EvS5_mmT0_
	.p2align	8
	.type	_Z11fill_kernelI12hip_bfloat16Z21hipblaslt_init_deviceIS0_Ev8ABC_dims24hipblaslt_initializationbPT_mmmmmEUlmE7_EvS5_mmT0_,@function
_Z11fill_kernelI12hip_bfloat16Z21hipblaslt_init_deviceIS0_Ev8ABC_dims24hipblaslt_initializationbPT_mmmmmEUlmE7_EvS5_mmT0_: ; @_Z11fill_kernelI12hip_bfloat16Z21hipblaslt_init_deviceIS0_Ev8ABC_dims24hipblaslt_initializationbPT_mmmmmEUlmE7_EvS5_mmT0_
; %bb.0:
	s_clause 0x1
	s_load_b32 s2, s[0:1], 0x2c
	s_load_b128 s[4:7], s[0:1], 0x0
	s_bfe_u32 s3, ttmp6, 0x4000c
	s_and_b32 s8, ttmp6, 15
	s_add_co_i32 s3, s3, 1
	s_getreg_b32 s9, hwreg(HW_REG_IB_STS2, 6, 4)
	s_mul_i32 s3, ttmp9, s3
	v_mov_b32_e32 v1, 0
	s_add_co_i32 s8, s8, s3
	s_wait_kmcnt 0x0
	s_and_b32 s2, s2, 0xffff
	s_cmp_eq_u32 s9, 0
	s_cselect_b32 s3, ttmp9, s8
	s_delay_alu instid0(SALU_CYCLE_1) | instskip(SKIP_1) | instid1(VALU_DEP_1)
	v_mad_u32 v0, s3, s2, v0
	s_mov_b32 s2, exec_lo
	v_cmpx_gt_u64_e64 s[6:7], v[0:1]
	s_cbranch_execz .LBB41_6
; %bb.1:
	s_load_b64 s[0:1], s[0:1], 0x10
	s_wait_kmcnt 0x0
	v_add_nc_u64_e32 v[0:1], s[0:1], v[0:1]
	s_mov_b32 s0, 0x19660d
	s_delay_alu instid0(VALU_DEP_1) | instid1(SALU_CYCLE_1)
	v_mad_nc_u64_u32 v[2:3], v0, s0, 0x3c6ef35f
	s_delay_alu instid0(VALU_DEP_1) | instskip(NEXT) | instid1(VALU_DEP_1)
	v_mad_u32 v3, 0x19660d, v1, v3
	v_lshlrev_b64_e32 v[4:5], 13, v[2:3]
	s_delay_alu instid0(VALU_DEP_1) | instskip(NEXT) | instid1(VALU_DEP_2)
	v_xor_b32_e32 v3, v5, v3
	v_xor_b32_e32 v2, v4, v2
	s_delay_alu instid0(VALU_DEP_1) | instskip(NEXT) | instid1(VALU_DEP_1)
	v_lshrrev_b64 v[4:5], 17, v[2:3]
	v_xor_b32_e32 v3, v5, v3
	s_delay_alu instid0(VALU_DEP_2) | instskip(NEXT) | instid1(VALU_DEP_1)
	v_xor_b32_e32 v2, v4, v2
	v_lshlrev_b64_e32 v[4:5], 5, v[2:3]
	s_delay_alu instid0(VALU_DEP_1) | instskip(NEXT) | instid1(VALU_DEP_2)
	v_xor_b32_e32 v3, v5, v3
	v_xor_b32_e32 v2, v4, v2
	s_delay_alu instid0(VALU_DEP_1) | instskip(NEXT) | instid1(VALU_DEP_1)
	v_lshlrev_b64_e32 v[4:5], 13, v[2:3]
	v_xor_b32_e32 v3, v5, v3
	s_delay_alu instid0(VALU_DEP_2) | instskip(NEXT) | instid1(VALU_DEP_1)
	v_xor_b32_e32 v2, v4, v2
	v_lshrrev_b64 v[4:5], 17, v[2:3]
	s_delay_alu instid0(VALU_DEP_1) | instskip(NEXT) | instid1(VALU_DEP_2)
	v_xor_b32_e32 v3, v5, v3
	v_xor_b32_e32 v2, v4, v2
	s_delay_alu instid0(VALU_DEP_1) | instskip(NEXT) | instid1(VALU_DEP_1)
	v_lshlrev_b64_e32 v[4:5], 5, v[2:3]
	v_xor_b32_e32 v3, v5, v3
	s_delay_alu instid0(VALU_DEP_2) | instskip(NEXT) | instid1(VALU_DEP_1)
	v_xor_b32_e32 v2, v4, v2
	v_lshlrev_b64_e32 v[4:5], 13, v[2:3]
	s_delay_alu instid0(VALU_DEP_1) | instskip(NEXT) | instid1(VALU_DEP_2)
	v_xor_b32_e32 v3, v5, v3
	v_xor_b32_e32 v2, v4, v2
	s_delay_alu instid0(VALU_DEP_1) | instskip(NEXT) | instid1(VALU_DEP_1)
	v_alignbit_b32 v3, v3, v2, 17
	v_xor_b32_e32 v2, v3, v2
	s_delay_alu instid0(VALU_DEP_1) | instskip(NEXT) | instid1(VALU_DEP_1)
	v_lshlrev_b32_e32 v3, 5, v2
	v_xor_b32_e32 v2, v3, v2
	s_delay_alu instid0(VALU_DEP_1) | instskip(NEXT) | instid1(VALU_DEP_1)
	v_mul_hi_u32 v3, 0xcccccccd, v2
	v_lshrrev_b32_e32 v3, 3, v3
	s_delay_alu instid0(VALU_DEP_1) | instskip(NEXT) | instid1(VALU_DEP_1)
	v_mul_lo_u32 v3, v3, 10
	v_sub_nc_u32_e32 v2, v2, v3
	s_delay_alu instid0(VALU_DEP_1) | instskip(NEXT) | instid1(VALU_DEP_1)
	v_add_nc_u32_e32 v2, 1, v2
	v_cvt_f32_u32_e32 v3, v2
	s_delay_alu instid0(VALU_DEP_1) | instskip(NEXT) | instid1(VALU_DEP_1)
	v_and_b32_e32 v2, 0x7f800000, v3
	v_cmp_ne_u32_e32 vcc_lo, 0x7f800000, v2
                                        ; implicit-def: $vgpr2
	s_and_saveexec_b32 s0, vcc_lo
	s_delay_alu instid0(SALU_CYCLE_1)
	s_xor_b32 s0, exec_lo, s0
; %bb.2:
	v_bfe_u32 v2, v3, 16, 1
	s_delay_alu instid0(VALU_DEP_1)
	v_add3_u32 v2, v3, v2, 0x7fff
                                        ; implicit-def: $vgpr3
; %bb.3:
	s_and_not1_saveexec_b32 s0, s0
; %bb.4:
	v_and_b32_e32 v2, 0xffff, v3
	v_or_b32_e32 v4, 0x10000, v3
	s_delay_alu instid0(VALU_DEP_2) | instskip(NEXT) | instid1(VALU_DEP_2)
	v_cmp_eq_u32_e32 vcc_lo, 0, v2
	v_cndmask_b32_e32 v2, v4, v3, vcc_lo
; %bb.5:
	s_or_b32 exec_lo, exec_lo, s0
	v_lshl_add_u64 v[0:1], v[0:1], 1, s[4:5]
	global_store_d16_hi_b16 v[0:1], v2, off
.LBB41_6:
	s_endpgm
	.section	.rodata,"a",@progbits
	.p2align	6, 0x0
	.amdhsa_kernel _Z11fill_kernelI12hip_bfloat16Z21hipblaslt_init_deviceIS0_Ev8ABC_dims24hipblaslt_initializationbPT_mmmmmEUlmE7_EvS5_mmT0_
		.amdhsa_group_segment_fixed_size 0
		.amdhsa_private_segment_fixed_size 0
		.amdhsa_kernarg_size 288
		.amdhsa_user_sgpr_count 2
		.amdhsa_user_sgpr_dispatch_ptr 0
		.amdhsa_user_sgpr_queue_ptr 0
		.amdhsa_user_sgpr_kernarg_segment_ptr 1
		.amdhsa_user_sgpr_dispatch_id 0
		.amdhsa_user_sgpr_kernarg_preload_length 0
		.amdhsa_user_sgpr_kernarg_preload_offset 0
		.amdhsa_user_sgpr_private_segment_size 0
		.amdhsa_wavefront_size32 1
		.amdhsa_uses_dynamic_stack 0
		.amdhsa_enable_private_segment 0
		.amdhsa_system_sgpr_workgroup_id_x 1
		.amdhsa_system_sgpr_workgroup_id_y 0
		.amdhsa_system_sgpr_workgroup_id_z 0
		.amdhsa_system_sgpr_workgroup_info 0
		.amdhsa_system_vgpr_workitem_id 0
		.amdhsa_next_free_vgpr 6
		.amdhsa_next_free_sgpr 10
		.amdhsa_named_barrier_count 0
		.amdhsa_reserve_vcc 1
		.amdhsa_float_round_mode_32 0
		.amdhsa_float_round_mode_16_64 0
		.amdhsa_float_denorm_mode_32 3
		.amdhsa_float_denorm_mode_16_64 3
		.amdhsa_fp16_overflow 0
		.amdhsa_memory_ordered 1
		.amdhsa_forward_progress 1
		.amdhsa_inst_pref_size 4
		.amdhsa_round_robin_scheduling 0
		.amdhsa_exception_fp_ieee_invalid_op 0
		.amdhsa_exception_fp_denorm_src 0
		.amdhsa_exception_fp_ieee_div_zero 0
		.amdhsa_exception_fp_ieee_overflow 0
		.amdhsa_exception_fp_ieee_underflow 0
		.amdhsa_exception_fp_ieee_inexact 0
		.amdhsa_exception_int_div_zero 0
	.end_amdhsa_kernel
	.section	.text._Z11fill_kernelI12hip_bfloat16Z21hipblaslt_init_deviceIS0_Ev8ABC_dims24hipblaslt_initializationbPT_mmmmmEUlmE7_EvS5_mmT0_,"axG",@progbits,_Z11fill_kernelI12hip_bfloat16Z21hipblaslt_init_deviceIS0_Ev8ABC_dims24hipblaslt_initializationbPT_mmmmmEUlmE7_EvS5_mmT0_,comdat
.Lfunc_end41:
	.size	_Z11fill_kernelI12hip_bfloat16Z21hipblaslt_init_deviceIS0_Ev8ABC_dims24hipblaslt_initializationbPT_mmmmmEUlmE7_EvS5_mmT0_, .Lfunc_end41-_Z11fill_kernelI12hip_bfloat16Z21hipblaslt_init_deviceIS0_Ev8ABC_dims24hipblaslt_initializationbPT_mmmmmEUlmE7_EvS5_mmT0_
                                        ; -- End function
	.set _Z11fill_kernelI12hip_bfloat16Z21hipblaslt_init_deviceIS0_Ev8ABC_dims24hipblaslt_initializationbPT_mmmmmEUlmE7_EvS5_mmT0_.num_vgpr, 6
	.set _Z11fill_kernelI12hip_bfloat16Z21hipblaslt_init_deviceIS0_Ev8ABC_dims24hipblaslt_initializationbPT_mmmmmEUlmE7_EvS5_mmT0_.num_agpr, 0
	.set _Z11fill_kernelI12hip_bfloat16Z21hipblaslt_init_deviceIS0_Ev8ABC_dims24hipblaslt_initializationbPT_mmmmmEUlmE7_EvS5_mmT0_.numbered_sgpr, 10
	.set _Z11fill_kernelI12hip_bfloat16Z21hipblaslt_init_deviceIS0_Ev8ABC_dims24hipblaslt_initializationbPT_mmmmmEUlmE7_EvS5_mmT0_.num_named_barrier, 0
	.set _Z11fill_kernelI12hip_bfloat16Z21hipblaslt_init_deviceIS0_Ev8ABC_dims24hipblaslt_initializationbPT_mmmmmEUlmE7_EvS5_mmT0_.private_seg_size, 0
	.set _Z11fill_kernelI12hip_bfloat16Z21hipblaslt_init_deviceIS0_Ev8ABC_dims24hipblaslt_initializationbPT_mmmmmEUlmE7_EvS5_mmT0_.uses_vcc, 1
	.set _Z11fill_kernelI12hip_bfloat16Z21hipblaslt_init_deviceIS0_Ev8ABC_dims24hipblaslt_initializationbPT_mmmmmEUlmE7_EvS5_mmT0_.uses_flat_scratch, 0
	.set _Z11fill_kernelI12hip_bfloat16Z21hipblaslt_init_deviceIS0_Ev8ABC_dims24hipblaslt_initializationbPT_mmmmmEUlmE7_EvS5_mmT0_.has_dyn_sized_stack, 0
	.set _Z11fill_kernelI12hip_bfloat16Z21hipblaslt_init_deviceIS0_Ev8ABC_dims24hipblaslt_initializationbPT_mmmmmEUlmE7_EvS5_mmT0_.has_recursion, 0
	.set _Z11fill_kernelI12hip_bfloat16Z21hipblaslt_init_deviceIS0_Ev8ABC_dims24hipblaslt_initializationbPT_mmmmmEUlmE7_EvS5_mmT0_.has_indirect_call, 0
	.section	.AMDGPU.csdata,"",@progbits
; Kernel info:
; codeLenInByte = 480
; TotalNumSgprs: 12
; NumVgprs: 6
; ScratchSize: 0
; MemoryBound: 0
; FloatMode: 240
; IeeeMode: 1
; LDSByteSize: 0 bytes/workgroup (compile time only)
; SGPRBlocks: 0
; VGPRBlocks: 0
; NumSGPRsForWavesPerEU: 12
; NumVGPRsForWavesPerEU: 6
; NamedBarCnt: 0
; Occupancy: 16
; WaveLimiterHint : 0
; COMPUTE_PGM_RSRC2:SCRATCH_EN: 0
; COMPUTE_PGM_RSRC2:USER_SGPR: 2
; COMPUTE_PGM_RSRC2:TRAP_HANDLER: 0
; COMPUTE_PGM_RSRC2:TGID_X_EN: 1
; COMPUTE_PGM_RSRC2:TGID_Y_EN: 0
; COMPUTE_PGM_RSRC2:TGID_Z_EN: 0
; COMPUTE_PGM_RSRC2:TIDIG_COMP_CNT: 0
	.section	.text._Z11fill_kernelI12hip_bfloat16Z21hipblaslt_init_deviceIS0_Ev8ABC_dims24hipblaslt_initializationbPT_mmmmmEUlmE8_EvS5_mmT0_,"axG",@progbits,_Z11fill_kernelI12hip_bfloat16Z21hipblaslt_init_deviceIS0_Ev8ABC_dims24hipblaslt_initializationbPT_mmmmmEUlmE8_EvS5_mmT0_,comdat
	.protected	_Z11fill_kernelI12hip_bfloat16Z21hipblaslt_init_deviceIS0_Ev8ABC_dims24hipblaslt_initializationbPT_mmmmmEUlmE8_EvS5_mmT0_ ; -- Begin function _Z11fill_kernelI12hip_bfloat16Z21hipblaslt_init_deviceIS0_Ev8ABC_dims24hipblaslt_initializationbPT_mmmmmEUlmE8_EvS5_mmT0_
	.globl	_Z11fill_kernelI12hip_bfloat16Z21hipblaslt_init_deviceIS0_Ev8ABC_dims24hipblaslt_initializationbPT_mmmmmEUlmE8_EvS5_mmT0_
	.p2align	8
	.type	_Z11fill_kernelI12hip_bfloat16Z21hipblaslt_init_deviceIS0_Ev8ABC_dims24hipblaslt_initializationbPT_mmmmmEUlmE8_EvS5_mmT0_,@function
_Z11fill_kernelI12hip_bfloat16Z21hipblaslt_init_deviceIS0_Ev8ABC_dims24hipblaslt_initializationbPT_mmmmmEUlmE8_EvS5_mmT0_: ; @_Z11fill_kernelI12hip_bfloat16Z21hipblaslt_init_deviceIS0_Ev8ABC_dims24hipblaslt_initializationbPT_mmmmmEUlmE8_EvS5_mmT0_
; %bb.0:
	s_clause 0x1
	s_load_b32 s2, s[0:1], 0x2c
	s_load_b128 s[4:7], s[0:1], 0x0
	s_bfe_u32 s3, ttmp6, 0x4000c
	s_and_b32 s8, ttmp6, 15
	s_add_co_i32 s3, s3, 1
	s_getreg_b32 s9, hwreg(HW_REG_IB_STS2, 6, 4)
	s_mul_i32 s3, ttmp9, s3
	v_mov_b32_e32 v1, 0
	s_add_co_i32 s8, s8, s3
	s_wait_kmcnt 0x0
	s_and_b32 s2, s2, 0xffff
	s_cmp_eq_u32 s9, 0
	s_cselect_b32 s3, ttmp9, s8
	s_delay_alu instid0(SALU_CYCLE_1) | instskip(SKIP_1) | instid1(VALU_DEP_1)
	v_mad_u32 v0, s3, s2, v0
	s_mov_b32 s2, exec_lo
	v_cmpx_gt_u64_e64 s[6:7], v[0:1]
	s_cbranch_execz .LBB42_2
; %bb.1:
	s_load_b64 s[0:1], s[0:1], 0x10
	s_wait_kmcnt 0x0
	s_lshl_b64 s[0:1], s[0:1], 1
	s_delay_alu instid0(SALU_CYCLE_1) | instskip(NEXT) | instid1(SALU_CYCLE_1)
	s_add_nc_u64 s[0:1], s[4:5], s[0:1]
	v_lshl_add_u64 v[2:3], v[0:1], 1, s[0:1]
	global_store_b16 v[2:3], v1, off
.LBB42_2:
	s_endpgm
	.section	.rodata,"a",@progbits
	.p2align	6, 0x0
	.amdhsa_kernel _Z11fill_kernelI12hip_bfloat16Z21hipblaslt_init_deviceIS0_Ev8ABC_dims24hipblaslt_initializationbPT_mmmmmEUlmE8_EvS5_mmT0_
		.amdhsa_group_segment_fixed_size 0
		.amdhsa_private_segment_fixed_size 0
		.amdhsa_kernarg_size 288
		.amdhsa_user_sgpr_count 2
		.amdhsa_user_sgpr_dispatch_ptr 0
		.amdhsa_user_sgpr_queue_ptr 0
		.amdhsa_user_sgpr_kernarg_segment_ptr 1
		.amdhsa_user_sgpr_dispatch_id 0
		.amdhsa_user_sgpr_kernarg_preload_length 0
		.amdhsa_user_sgpr_kernarg_preload_offset 0
		.amdhsa_user_sgpr_private_segment_size 0
		.amdhsa_wavefront_size32 1
		.amdhsa_uses_dynamic_stack 0
		.amdhsa_enable_private_segment 0
		.amdhsa_system_sgpr_workgroup_id_x 1
		.amdhsa_system_sgpr_workgroup_id_y 0
		.amdhsa_system_sgpr_workgroup_id_z 0
		.amdhsa_system_sgpr_workgroup_info 0
		.amdhsa_system_vgpr_workitem_id 0
		.amdhsa_next_free_vgpr 4
		.amdhsa_next_free_sgpr 10
		.amdhsa_named_barrier_count 0
		.amdhsa_reserve_vcc 0
		.amdhsa_float_round_mode_32 0
		.amdhsa_float_round_mode_16_64 0
		.amdhsa_float_denorm_mode_32 3
		.amdhsa_float_denorm_mode_16_64 3
		.amdhsa_fp16_overflow 0
		.amdhsa_memory_ordered 1
		.amdhsa_forward_progress 1
		.amdhsa_inst_pref_size 2
		.amdhsa_round_robin_scheduling 0
		.amdhsa_exception_fp_ieee_invalid_op 0
		.amdhsa_exception_fp_denorm_src 0
		.amdhsa_exception_fp_ieee_div_zero 0
		.amdhsa_exception_fp_ieee_overflow 0
		.amdhsa_exception_fp_ieee_underflow 0
		.amdhsa_exception_fp_ieee_inexact 0
		.amdhsa_exception_int_div_zero 0
	.end_amdhsa_kernel
	.section	.text._Z11fill_kernelI12hip_bfloat16Z21hipblaslt_init_deviceIS0_Ev8ABC_dims24hipblaslt_initializationbPT_mmmmmEUlmE8_EvS5_mmT0_,"axG",@progbits,_Z11fill_kernelI12hip_bfloat16Z21hipblaslt_init_deviceIS0_Ev8ABC_dims24hipblaslt_initializationbPT_mmmmmEUlmE8_EvS5_mmT0_,comdat
.Lfunc_end42:
	.size	_Z11fill_kernelI12hip_bfloat16Z21hipblaslt_init_deviceIS0_Ev8ABC_dims24hipblaslt_initializationbPT_mmmmmEUlmE8_EvS5_mmT0_, .Lfunc_end42-_Z11fill_kernelI12hip_bfloat16Z21hipblaslt_init_deviceIS0_Ev8ABC_dims24hipblaslt_initializationbPT_mmmmmEUlmE8_EvS5_mmT0_
                                        ; -- End function
	.set _Z11fill_kernelI12hip_bfloat16Z21hipblaslt_init_deviceIS0_Ev8ABC_dims24hipblaslt_initializationbPT_mmmmmEUlmE8_EvS5_mmT0_.num_vgpr, 4
	.set _Z11fill_kernelI12hip_bfloat16Z21hipblaslt_init_deviceIS0_Ev8ABC_dims24hipblaslt_initializationbPT_mmmmmEUlmE8_EvS5_mmT0_.num_agpr, 0
	.set _Z11fill_kernelI12hip_bfloat16Z21hipblaslt_init_deviceIS0_Ev8ABC_dims24hipblaslt_initializationbPT_mmmmmEUlmE8_EvS5_mmT0_.numbered_sgpr, 10
	.set _Z11fill_kernelI12hip_bfloat16Z21hipblaslt_init_deviceIS0_Ev8ABC_dims24hipblaslt_initializationbPT_mmmmmEUlmE8_EvS5_mmT0_.num_named_barrier, 0
	.set _Z11fill_kernelI12hip_bfloat16Z21hipblaslt_init_deviceIS0_Ev8ABC_dims24hipblaslt_initializationbPT_mmmmmEUlmE8_EvS5_mmT0_.private_seg_size, 0
	.set _Z11fill_kernelI12hip_bfloat16Z21hipblaslt_init_deviceIS0_Ev8ABC_dims24hipblaslt_initializationbPT_mmmmmEUlmE8_EvS5_mmT0_.uses_vcc, 0
	.set _Z11fill_kernelI12hip_bfloat16Z21hipblaslt_init_deviceIS0_Ev8ABC_dims24hipblaslt_initializationbPT_mmmmmEUlmE8_EvS5_mmT0_.uses_flat_scratch, 0
	.set _Z11fill_kernelI12hip_bfloat16Z21hipblaslt_init_deviceIS0_Ev8ABC_dims24hipblaslt_initializationbPT_mmmmmEUlmE8_EvS5_mmT0_.has_dyn_sized_stack, 0
	.set _Z11fill_kernelI12hip_bfloat16Z21hipblaslt_init_deviceIS0_Ev8ABC_dims24hipblaslt_initializationbPT_mmmmmEUlmE8_EvS5_mmT0_.has_recursion, 0
	.set _Z11fill_kernelI12hip_bfloat16Z21hipblaslt_init_deviceIS0_Ev8ABC_dims24hipblaslt_initializationbPT_mmmmmEUlmE8_EvS5_mmT0_.has_indirect_call, 0
	.section	.AMDGPU.csdata,"",@progbits
; Kernel info:
; codeLenInByte = 148
; TotalNumSgprs: 10
; NumVgprs: 4
; ScratchSize: 0
; MemoryBound: 0
; FloatMode: 240
; IeeeMode: 1
; LDSByteSize: 0 bytes/workgroup (compile time only)
; SGPRBlocks: 0
; VGPRBlocks: 0
; NumSGPRsForWavesPerEU: 10
; NumVGPRsForWavesPerEU: 4
; NamedBarCnt: 0
; Occupancy: 16
; WaveLimiterHint : 0
; COMPUTE_PGM_RSRC2:SCRATCH_EN: 0
; COMPUTE_PGM_RSRC2:USER_SGPR: 2
; COMPUTE_PGM_RSRC2:TRAP_HANDLER: 0
; COMPUTE_PGM_RSRC2:TGID_X_EN: 1
; COMPUTE_PGM_RSRC2:TGID_Y_EN: 0
; COMPUTE_PGM_RSRC2:TGID_Z_EN: 0
; COMPUTE_PGM_RSRC2:TIDIG_COMP_CNT: 0
	.section	.text._Z11fill_kernelI12hip_bfloat16Z21hipblaslt_init_deviceIS0_Ev8ABC_dims24hipblaslt_initializationbPT_mmmmmEUlmE9_EvS5_mmT0_,"axG",@progbits,_Z11fill_kernelI12hip_bfloat16Z21hipblaslt_init_deviceIS0_Ev8ABC_dims24hipblaslt_initializationbPT_mmmmmEUlmE9_EvS5_mmT0_,comdat
	.protected	_Z11fill_kernelI12hip_bfloat16Z21hipblaslt_init_deviceIS0_Ev8ABC_dims24hipblaslt_initializationbPT_mmmmmEUlmE9_EvS5_mmT0_ ; -- Begin function _Z11fill_kernelI12hip_bfloat16Z21hipblaslt_init_deviceIS0_Ev8ABC_dims24hipblaslt_initializationbPT_mmmmmEUlmE9_EvS5_mmT0_
	.globl	_Z11fill_kernelI12hip_bfloat16Z21hipblaslt_init_deviceIS0_Ev8ABC_dims24hipblaslt_initializationbPT_mmmmmEUlmE9_EvS5_mmT0_
	.p2align	8
	.type	_Z11fill_kernelI12hip_bfloat16Z21hipblaslt_init_deviceIS0_Ev8ABC_dims24hipblaslt_initializationbPT_mmmmmEUlmE9_EvS5_mmT0_,@function
_Z11fill_kernelI12hip_bfloat16Z21hipblaslt_init_deviceIS0_Ev8ABC_dims24hipblaslt_initializationbPT_mmmmmEUlmE9_EvS5_mmT0_: ; @_Z11fill_kernelI12hip_bfloat16Z21hipblaslt_init_deviceIS0_Ev8ABC_dims24hipblaslt_initializationbPT_mmmmmEUlmE9_EvS5_mmT0_
; %bb.0:
	s_clause 0x1
	s_load_b32 s2, s[0:1], 0x2c
	s_load_b128 s[4:7], s[0:1], 0x0
	s_bfe_u32 s3, ttmp6, 0x4000c
	s_and_b32 s8, ttmp6, 15
	s_add_co_i32 s3, s3, 1
	s_getreg_b32 s9, hwreg(HW_REG_IB_STS2, 6, 4)
	s_mul_i32 s3, ttmp9, s3
	v_mov_b32_e32 v1, 0
	s_add_co_i32 s8, s8, s3
	s_wait_kmcnt 0x0
	s_and_b32 s2, s2, 0xffff
	s_cmp_eq_u32 s9, 0
	s_cselect_b32 s3, ttmp9, s8
	s_delay_alu instid0(SALU_CYCLE_1) | instskip(SKIP_1) | instid1(VALU_DEP_1)
	v_mad_u32 v0, s3, s2, v0
	s_mov_b32 s2, exec_lo
	v_cmpx_gt_u64_e64 s[6:7], v[0:1]
	s_cbranch_execz .LBB43_10
; %bb.1:
	s_load_b96 s[0:2], s[0:1], 0x10
	s_wait_kmcnt 0x0
	v_add_nc_u64_e32 v[0:1], s[0:1], v[0:1]
	s_mov_b32 s0, 0xb90ffb1d
	s_delay_alu instid0(VALU_DEP_1) | instskip(NEXT) | instid1(VALU_DEP_1)
	v_add_nc_u32_e32 v2, s2, v0
	v_mad_u32 v3, v2, s0, 0xdc6d3ef
	s_mov_b32 s0, 0x6ab9d291
	s_delay_alu instid0(VALU_DEP_1) | instskip(SKIP_3) | instid1(VALU_DEP_2)
	v_lshrrev_b32_e32 v5, 2, v3
	v_mad_u32 v4, 0x10dcd, v2, 1
	v_mad_u32 v6, v2, s0, 0xdfb3c992
	s_mov_b32 s0, exec_lo
	v_dual_lshlrev_b32 v7, 4, v4 :: v_dual_bitop2_b32 v3, v5, v3 bitop3:0x14
	s_delay_alu instid0(VALU_DEP_1) | instskip(NEXT) | instid1(VALU_DEP_1)
	v_dual_lshlrev_b32 v5, 1, v3 :: v_dual_lshrrev_b32 v8, 2, v6
	v_xor_b32_e32 v6, v8, v6
	s_delay_alu instid0(VALU_DEP_2) | instskip(NEXT) | instid1(VALU_DEP_1)
	v_xor_b32_e32 v5, v7, v5
	v_xor3_b32 v3, v5, v4, v3
	s_delay_alu instid0(VALU_DEP_1) | instskip(NEXT) | instid1(VALU_DEP_1)
	v_dual_lshlrev_b32 v5, 4, v3 :: v_dual_lshlrev_b32 v4, 1, v6
	v_xor_b32_e32 v5, v4, v5
	v_xor_b32_e32 v4, 0x587c5, v2
	s_delay_alu instid0(VALU_DEP_2) | instskip(NEXT) | instid1(VALU_DEP_1)
	v_xor3_b32 v2, v5, v6, v3
                                        ; implicit-def: $vgpr6
                                        ; implicit-def: $vgpr5
	v_add3_u32 v2, v4, v2, 0xb0f8a
	s_delay_alu instid0(VALU_DEP_1) | instskip(NEXT) | instid1(VALU_DEP_1)
	v_cvt_f32_u32_e32 v2, v2
	v_mul_f32_e32 v2, 0x2f800000, v2
	s_delay_alu instid0(VALU_DEP_1) | instskip(NEXT) | instid1(VALU_DEP_1)
	v_mul_f32_e32 v2, 0x40c90fdb, v2
	v_cmpx_ngt_f32_e32 0x48000000, v2
	s_xor_b32 s2, exec_lo, s0
	s_cbranch_execz .LBB43_3
; %bb.2:
	s_mov_b32 s0, 0x7fffff
	v_mov_b32_e32 v7, 0
	v_and_or_b32 v6, v2, s0, 0x800000
	s_mov_b64 s[0:1], 0xfe5163ab
	v_lshrrev_b32_e32 v5, 23, v2
	s_delay_alu instid0(VALU_DEP_2) | instskip(NEXT) | instid1(VALU_DEP_1)
	v_mul_u64_e32 v[8:9], s[0:1], v[6:7]
	v_dual_mov_b32 v10, v9 :: v_dual_mov_b32 v11, v7
	v_dual_mov_b32 v13, v7 :: v_dual_mov_b32 v15, v7
	;; [unrolled: 1-line block ×3, first 2 shown]
	s_delay_alu instid0(VALU_DEP_3) | instskip(NEXT) | instid1(VALU_DEP_1)
	v_mad_nc_u64_u32 v[10:11], 0x3c439041, v6, v[10:11]
	v_mov_b32_e32 v12, v11
	s_delay_alu instid0(VALU_DEP_1) | instskip(NEXT) | instid1(VALU_DEP_1)
	v_mad_nc_u64_u32 v[12:13], 0xdb629599, v6, v[12:13]
	v_mov_b32_e32 v14, v13
	s_delay_alu instid0(VALU_DEP_1) | instskip(NEXT) | instid1(VALU_DEP_1)
	;; [unrolled: 3-line block ×3, first 2 shown]
	v_mad_nc_u64_u32 v[16:17], 0xfc2757d1, v6, v[16:17]
	v_dual_mov_b32 v19, v7 :: v_dual_mov_b32 v18, v17
	s_delay_alu instid0(VALU_DEP_1) | instskip(NEXT) | instid1(VALU_DEP_1)
	v_mad_nc_u64_u32 v[18:19], 0x4e441529, v6, v[18:19]
	v_dual_mov_b32 v20, v19 :: v_dual_add_nc_u32 v5, 0xffffff88, v5
	s_delay_alu instid0(VALU_DEP_1) | instskip(NEXT) | instid1(VALU_DEP_2)
	v_cmp_lt_u32_e32 vcc_lo, 63, v5
	v_mad_nc_u64_u32 v[6:7], 0xa2f9836e, v6, v[20:21]
	v_cndmask_b32_e64 v9, 0, 0xffffffc0, vcc_lo
	v_dual_cndmask_b32 v11, v18, v14 :: v_dual_cndmask_b32 v8, v12, v8
	s_delay_alu instid0(VALU_DEP_2) | instskip(NEXT) | instid1(VALU_DEP_1)
	v_add_nc_u32_e32 v5, v9, v5
	v_cmp_lt_u32_e64 s0, 31, v5
	v_dual_cndmask_b32 v6, v6, v16 :: v_dual_cndmask_b32 v7, v7, v18
	s_delay_alu instid0(VALU_DEP_2) | instskip(NEXT) | instid1(VALU_DEP_1)
	v_cndmask_b32_e64 v9, 0, 0xffffffe0, s0
	v_add_nc_u32_e32 v5, v9, v5
	s_delay_alu instid0(VALU_DEP_1) | instskip(NEXT) | instid1(VALU_DEP_1)
	v_cmp_lt_u32_e64 s1, 31, v5
	v_cndmask_b32_e64 v9, 0, 0xffffffe0, s1
	s_delay_alu instid0(VALU_DEP_1) | instskip(SKIP_2) | instid1(VALU_DEP_3)
	v_dual_cndmask_b32 v13, v16, v12, vcc_lo :: v_dual_add_nc_u32 v5, v9, v5
	v_cndmask_b32_e32 v9, v14, v10, vcc_lo
	v_dual_cndmask_b32 v10, v6, v11, s0 :: v_dual_cndmask_b32 v6, v7, v6, s0
	v_cndmask_b32_e64 v7, v11, v13, s0
	s_delay_alu instid0(VALU_DEP_4) | instskip(NEXT) | instid1(VALU_DEP_4)
	v_sub_nc_u32_e32 v11, 32, v5
	v_cndmask_b32_e64 v13, v13, v9, s0
	v_cmp_eq_u32_e32 vcc_lo, 0, v5
	v_cndmask_b32_e64 v6, v6, v10, s1
	s_delay_alu instid0(VALU_DEP_3) | instskip(NEXT) | instid1(VALU_DEP_1)
	v_dual_cndmask_b32 v10, v10, v7, s1 :: v_dual_cndmask_b32 v7, v7, v13, s1
	v_alignbit_b32 v14, v6, v10, v11
	s_delay_alu instid0(VALU_DEP_2) | instskip(NEXT) | instid1(VALU_DEP_2)
	v_alignbit_b32 v12, v10, v7, v11
	v_dual_cndmask_b32 v5, v14, v6, vcc_lo :: v_dual_cndmask_b32 v6, v9, v8, s0
	s_delay_alu instid0(VALU_DEP_1) | instskip(NEXT) | instid1(VALU_DEP_1)
	v_bfe_u32 v9, v5, 29, 1
	v_dual_cndmask_b32 v8, v12, v10, vcc_lo :: v_dual_sub_nc_u32 v12, 0, v9
	s_delay_alu instid0(VALU_DEP_1) | instskip(NEXT) | instid1(VALU_DEP_1)
	v_alignbit_b32 v10, v5, v8, 30
	v_dual_cndmask_b32 v6, v13, v6, s1 :: v_dual_bitop2_b32 v10, v10, v12 bitop3:0x14
	s_delay_alu instid0(VALU_DEP_1) | instskip(NEXT) | instid1(VALU_DEP_1)
	v_alignbit_b32 v11, v7, v6, v11
	v_cndmask_b32_e32 v7, v11, v7, vcc_lo
	s_delay_alu instid0(VALU_DEP_3) | instskip(NEXT) | instid1(VALU_DEP_2)
	v_clz_i32_u32_e32 v11, v10
	v_alignbit_b32 v6, v7, v6, 30
	s_delay_alu instid0(VALU_DEP_2) | instskip(NEXT) | instid1(VALU_DEP_2)
	v_min_u32_e32 v11, 32, v11
	v_xor_b32_e32 v6, v6, v12
	v_alignbit_b32 v8, v8, v7, 30
	s_delay_alu instid0(VALU_DEP_1) | instskip(SKIP_1) | instid1(VALU_DEP_1)
	v_dual_lshlrev_b32 v13, 23, v11 :: v_dual_bitop2_b32 v7, v8, v12 bitop3:0x14
	v_dual_sub_nc_u32 v8, 31, v11 :: v_dual_lshrrev_b32 v12, 29, v5
	v_alignbit_b32 v10, v10, v7, v8
	v_alignbit_b32 v6, v7, v6, v8
	s_delay_alu instid0(VALU_DEP_3) | instskip(NEXT) | instid1(VALU_DEP_2)
	v_lshlrev_b32_e32 v7, 31, v12
	v_alignbit_b32 v8, v10, v6, 9
	s_delay_alu instid0(VALU_DEP_2) | instskip(NEXT) | instid1(VALU_DEP_2)
	v_dual_lshrrev_b32 v10, 9, v10 :: v_dual_bitop2_b32 v12, 0.5, v7 bitop3:0x54
	v_clz_i32_u32_e32 v14, v8
	s_delay_alu instid0(VALU_DEP_2) | instskip(SKIP_1) | instid1(VALU_DEP_3)
	v_sub_nc_u32_e32 v12, v12, v13
	v_or_b32_e32 v7, 0x33000000, v7
	v_min_u32_e32 v13, 32, v14
	s_delay_alu instid0(VALU_DEP_1) | instskip(NEXT) | instid1(VALU_DEP_4)
	v_add_lshl_u32 v11, v13, v11, 23
	v_or_b32_e32 v10, v10, v12
	v_not_b32_e32 v12, v13
	s_delay_alu instid0(VALU_DEP_2) | instskip(NEXT) | instid1(VALU_DEP_2)
	v_dual_mul_f32 v14, 0x3fc90fda, v10 :: v_dual_sub_nc_u32 v7, v7, v11
	v_alignbit_b32 v6, v8, v6, v12
	s_delay_alu instid0(VALU_DEP_2) | instskip(NEXT) | instid1(VALU_DEP_2)
	v_fma_f32 v8, 0x3fc90fda, v10, -v14
	v_lshrrev_b32_e32 v6, 9, v6
	s_delay_alu instid0(VALU_DEP_2) | instskip(NEXT) | instid1(VALU_DEP_2)
	v_fmamk_f32 v8, v10, 0x33a22168, v8
	v_or_b32_e32 v6, v7, v6
	s_delay_alu instid0(VALU_DEP_1) | instskip(NEXT) | instid1(VALU_DEP_1)
	v_fmac_f32_e32 v8, 0x3fc90fda, v6
	v_dual_add_f32 v5, v14, v8 :: v_dual_lshrrev_b32 v6, 30, v5
	s_delay_alu instid0(VALU_DEP_1)
	v_add_nc_u32_e32 v6, v9, v6
.LBB43_3:
	s_and_not1_saveexec_b32 s0, s2
; %bb.4:
	v_mul_f32_e32 v5, 0x3f22f983, v2
	s_delay_alu instid0(VALU_DEP_1) | instskip(NEXT) | instid1(VALU_DEP_1)
	v_rndne_f32_e32 v6, v5
	v_fmamk_f32 v5, v6, 0xbfc90fda, v2
	s_delay_alu instid0(VALU_DEP_1) | instskip(NEXT) | instid1(VALU_DEP_1)
	v_fmamk_f32 v5, v6, 0xb3a22168, v5
	v_fmamk_f32 v5, v6, 0xa7c234c4, v5
	v_cvt_i32_f32_e32 v6, v6
; %bb.5:
	s_or_b32 exec_lo, exec_lo, s0
	v_add3_u32 v3, v4, v3, 0x587c5
	s_mov_b32 s0, 0xb94c1982
	s_mov_b32 s1, 0x37d75334
	s_delay_alu instid0(VALU_DEP_1) | instskip(NEXT) | instid1(VALU_DEP_1)
	v_cvt_f32_u32_e32 v3, v3
	v_mul_f32_e32 v3, 0x2f800000, v3
	s_delay_alu instid0(VALU_DEP_1) | instskip(SKIP_1) | instid1(VALU_DEP_1)
	v_cmp_ngt_f32_e32 vcc_lo, 0x2edbe6ff, v3
	v_cndmask_b32_e32 v3, 0x2edbe6ff, v3, vcc_lo
	v_cmp_gt_f32_e32 vcc_lo, 0x800000, v3
	v_cndmask_b32_e64 v4, 0, 32, vcc_lo
	v_cndmask_b32_e64 v7, 0, 0x41b17218, vcc_lo
	s_delay_alu instid0(VALU_DEP_2) | instskip(NEXT) | instid1(VALU_DEP_1)
	v_ldexp_f32 v3, v3, v4
	v_log_f32_e32 v3, v3
	v_nop
	s_delay_alu instid0(TRANS32_DEP_1) | instskip(SKIP_1) | instid1(VALU_DEP_2)
	v_mul_f32_e32 v4, 0x3f317217, v3
	v_cmp_gt_f32_e64 vcc_lo, 0x7f800000, |v3|
	v_fma_f32 v4, 0x3f317217, v3, -v4
	s_delay_alu instid0(VALU_DEP_1) | instskip(NEXT) | instid1(VALU_DEP_1)
	v_fmamk_f32 v4, v3, 0x3377d1cf, v4
	v_fmac_f32_e32 v4, 0x3f317217, v3
	s_delay_alu instid0(VALU_DEP_1) | instskip(NEXT) | instid1(VALU_DEP_1)
	v_cndmask_b32_e32 v3, v3, v4, vcc_lo
	v_dual_sub_f32 v3, v3, v7 :: v_dual_mul_f32 v7, v5, v5
	s_delay_alu instid0(VALU_DEP_1) | instskip(NEXT) | instid1(VALU_DEP_2)
	v_mul_f32_e32 v3, -2.0, v3
	v_fmaak_f32 v9, s0, v7, 0x3c0881c4
	v_fmaak_f32 v10, s1, v7, 0xbab64f3b
	s_delay_alu instid0(VALU_DEP_3) | instskip(SKIP_1) | instid1(VALU_DEP_2)
	v_mul_f32_e32 v4, 0x4f800000, v3
	v_cmp_gt_f32_e32 vcc_lo, 0xf800000, v3
	v_cndmask_b32_e32 v3, v3, v4, vcc_lo
	s_delay_alu instid0(VALU_DEP_1) | instskip(SKIP_1) | instid1(TRANS32_DEP_1)
	v_sqrt_f32_e32 v4, v3
	v_nop
	v_dual_add_nc_u32 v8, -1, v4 :: v_dual_add_nc_u32 v11, 1, v4
	s_delay_alu instid0(VALU_DEP_1) | instskip(NEXT) | instid1(VALU_DEP_1)
	v_dual_fma_f32 v12, -v8, v4, v3 :: v_dual_fma_f32 v13, -v11, v4, v3
	v_cmp_ge_f32_e64 s0, 0, v12
	s_delay_alu instid0(VALU_DEP_1) | instskip(NEXT) | instid1(VALU_DEP_3)
	v_cndmask_b32_e64 v4, v4, v8, s0
	v_cmp_lt_f32_e64 s0, 0, v13
	s_delay_alu instid0(VALU_DEP_1) | instskip(SKIP_1) | instid1(VALU_DEP_1)
	v_cndmask_b32_e64 v4, v4, v11, s0
	v_fmaak_f32 v9, v7, v9, 0xbe2aaa9d
	v_mul_f32_e32 v8, v7, v9
	s_delay_alu instid0(VALU_DEP_1) | instskip(NEXT) | instid1(VALU_DEP_4)
	v_fmac_f32_e32 v5, v5, v8
	v_mul_f32_e32 v8, 0x37800000, v4
	s_delay_alu instid0(VALU_DEP_1) | instskip(SKIP_1) | instid1(VALU_DEP_1)
	v_cndmask_b32_e32 v4, v4, v8, vcc_lo
	v_fmaak_f32 v10, v7, v10, 0x3d2aabf7
	v_fmaak_f32 v9, v7, v10, 0xbf000004
	v_dual_lshlrev_b32 v6, 30, v6 :: v_dual_bitop2_b32 v10, 1, v6 bitop3:0x40
	v_cmp_class_f32_e64 vcc_lo, v3, 0x260
	s_delay_alu instid0(VALU_DEP_3) | instskip(NEXT) | instid1(VALU_DEP_3)
	v_fma_f32 v7, v7, v9, 1.0
	v_cmp_eq_u32_e64 s0, 0, v10
	v_cndmask_b32_e32 v3, v4, v3, vcc_lo
	v_cmp_lg_f32_e32 vcc_lo, 0x7f800000, v2
	s_delay_alu instid0(VALU_DEP_3) | instskip(NEXT) | instid1(VALU_DEP_1)
	v_cndmask_b32_e64 v5, -v5, v7, s0
	v_bitop3_b32 v5, v6, v5, 0x80000000 bitop3:0x6c
	s_delay_alu instid0(VALU_DEP_1) | instskip(NEXT) | instid1(VALU_DEP_1)
	v_cndmask_b32_e32 v2, 0x7fc00000, v5, vcc_lo
	v_mul_f32_e32 v2, v3, v2
	s_delay_alu instid0(VALU_DEP_1) | instskip(NEXT) | instid1(VALU_DEP_1)
	v_and_b32_e32 v3, 0x7f800000, v2
	v_cmp_ne_u32_e32 vcc_lo, 0x7f800000, v3
                                        ; implicit-def: $vgpr3
	s_and_saveexec_b32 s0, vcc_lo
	s_delay_alu instid0(SALU_CYCLE_1)
	s_xor_b32 s0, exec_lo, s0
; %bb.6:
	v_bfe_u32 v3, v2, 16, 1
	s_delay_alu instid0(VALU_DEP_1)
	v_add3_u32 v3, v2, v3, 0x7fff
                                        ; implicit-def: $vgpr2
; %bb.7:
	s_and_not1_saveexec_b32 s0, s0
; %bb.8:
	v_and_b32_e32 v3, 0xffff, v2
	v_or_b32_e32 v4, 0x10000, v2
	s_delay_alu instid0(VALU_DEP_2) | instskip(NEXT) | instid1(VALU_DEP_2)
	v_cmp_eq_u32_e32 vcc_lo, 0, v3
	v_cndmask_b32_e32 v3, v4, v2, vcc_lo
; %bb.9:
	s_or_b32 exec_lo, exec_lo, s0
	v_lshl_add_u64 v[0:1], v[0:1], 1, s[4:5]
	global_store_d16_hi_b16 v[0:1], v3, off
.LBB43_10:
	s_endpgm
	.section	.rodata,"a",@progbits
	.p2align	6, 0x0
	.amdhsa_kernel _Z11fill_kernelI12hip_bfloat16Z21hipblaslt_init_deviceIS0_Ev8ABC_dims24hipblaslt_initializationbPT_mmmmmEUlmE9_EvS5_mmT0_
		.amdhsa_group_segment_fixed_size 0
		.amdhsa_private_segment_fixed_size 0
		.amdhsa_kernarg_size 288
		.amdhsa_user_sgpr_count 2
		.amdhsa_user_sgpr_dispatch_ptr 0
		.amdhsa_user_sgpr_queue_ptr 0
		.amdhsa_user_sgpr_kernarg_segment_ptr 1
		.amdhsa_user_sgpr_dispatch_id 0
		.amdhsa_user_sgpr_kernarg_preload_length 0
		.amdhsa_user_sgpr_kernarg_preload_offset 0
		.amdhsa_user_sgpr_private_segment_size 0
		.amdhsa_wavefront_size32 1
		.amdhsa_uses_dynamic_stack 0
		.amdhsa_enable_private_segment 0
		.amdhsa_system_sgpr_workgroup_id_x 1
		.amdhsa_system_sgpr_workgroup_id_y 0
		.amdhsa_system_sgpr_workgroup_id_z 0
		.amdhsa_system_sgpr_workgroup_info 0
		.amdhsa_system_vgpr_workitem_id 0
		.amdhsa_next_free_vgpr 22
		.amdhsa_next_free_sgpr 10
		.amdhsa_named_barrier_count 0
		.amdhsa_reserve_vcc 1
		.amdhsa_float_round_mode_32 0
		.amdhsa_float_round_mode_16_64 0
		.amdhsa_float_denorm_mode_32 3
		.amdhsa_float_denorm_mode_16_64 3
		.amdhsa_fp16_overflow 0
		.amdhsa_memory_ordered 1
		.amdhsa_forward_progress 1
		.amdhsa_inst_pref_size 14
		.amdhsa_round_robin_scheduling 0
		.amdhsa_exception_fp_ieee_invalid_op 0
		.amdhsa_exception_fp_denorm_src 0
		.amdhsa_exception_fp_ieee_div_zero 0
		.amdhsa_exception_fp_ieee_overflow 0
		.amdhsa_exception_fp_ieee_underflow 0
		.amdhsa_exception_fp_ieee_inexact 0
		.amdhsa_exception_int_div_zero 0
	.end_amdhsa_kernel
	.section	.text._Z11fill_kernelI12hip_bfloat16Z21hipblaslt_init_deviceIS0_Ev8ABC_dims24hipblaslt_initializationbPT_mmmmmEUlmE9_EvS5_mmT0_,"axG",@progbits,_Z11fill_kernelI12hip_bfloat16Z21hipblaslt_init_deviceIS0_Ev8ABC_dims24hipblaslt_initializationbPT_mmmmmEUlmE9_EvS5_mmT0_,comdat
.Lfunc_end43:
	.size	_Z11fill_kernelI12hip_bfloat16Z21hipblaslt_init_deviceIS0_Ev8ABC_dims24hipblaslt_initializationbPT_mmmmmEUlmE9_EvS5_mmT0_, .Lfunc_end43-_Z11fill_kernelI12hip_bfloat16Z21hipblaslt_init_deviceIS0_Ev8ABC_dims24hipblaslt_initializationbPT_mmmmmEUlmE9_EvS5_mmT0_
                                        ; -- End function
	.set _Z11fill_kernelI12hip_bfloat16Z21hipblaslt_init_deviceIS0_Ev8ABC_dims24hipblaslt_initializationbPT_mmmmmEUlmE9_EvS5_mmT0_.num_vgpr, 22
	.set _Z11fill_kernelI12hip_bfloat16Z21hipblaslt_init_deviceIS0_Ev8ABC_dims24hipblaslt_initializationbPT_mmmmmEUlmE9_EvS5_mmT0_.num_agpr, 0
	.set _Z11fill_kernelI12hip_bfloat16Z21hipblaslt_init_deviceIS0_Ev8ABC_dims24hipblaslt_initializationbPT_mmmmmEUlmE9_EvS5_mmT0_.numbered_sgpr, 10
	.set _Z11fill_kernelI12hip_bfloat16Z21hipblaslt_init_deviceIS0_Ev8ABC_dims24hipblaslt_initializationbPT_mmmmmEUlmE9_EvS5_mmT0_.num_named_barrier, 0
	.set _Z11fill_kernelI12hip_bfloat16Z21hipblaslt_init_deviceIS0_Ev8ABC_dims24hipblaslt_initializationbPT_mmmmmEUlmE9_EvS5_mmT0_.private_seg_size, 0
	.set _Z11fill_kernelI12hip_bfloat16Z21hipblaslt_init_deviceIS0_Ev8ABC_dims24hipblaslt_initializationbPT_mmmmmEUlmE9_EvS5_mmT0_.uses_vcc, 1
	.set _Z11fill_kernelI12hip_bfloat16Z21hipblaslt_init_deviceIS0_Ev8ABC_dims24hipblaslt_initializationbPT_mmmmmEUlmE9_EvS5_mmT0_.uses_flat_scratch, 0
	.set _Z11fill_kernelI12hip_bfloat16Z21hipblaslt_init_deviceIS0_Ev8ABC_dims24hipblaslt_initializationbPT_mmmmmEUlmE9_EvS5_mmT0_.has_dyn_sized_stack, 0
	.set _Z11fill_kernelI12hip_bfloat16Z21hipblaslt_init_deviceIS0_Ev8ABC_dims24hipblaslt_initializationbPT_mmmmmEUlmE9_EvS5_mmT0_.has_recursion, 0
	.set _Z11fill_kernelI12hip_bfloat16Z21hipblaslt_init_deviceIS0_Ev8ABC_dims24hipblaslt_initializationbPT_mmmmmEUlmE9_EvS5_mmT0_.has_indirect_call, 0
	.section	.AMDGPU.csdata,"",@progbits
; Kernel info:
; codeLenInByte = 1688
; TotalNumSgprs: 12
; NumVgprs: 22
; ScratchSize: 0
; MemoryBound: 0
; FloatMode: 240
; IeeeMode: 1
; LDSByteSize: 0 bytes/workgroup (compile time only)
; SGPRBlocks: 0
; VGPRBlocks: 1
; NumSGPRsForWavesPerEU: 12
; NumVGPRsForWavesPerEU: 22
; NamedBarCnt: 0
; Occupancy: 16
; WaveLimiterHint : 0
; COMPUTE_PGM_RSRC2:SCRATCH_EN: 0
; COMPUTE_PGM_RSRC2:USER_SGPR: 2
; COMPUTE_PGM_RSRC2:TRAP_HANDLER: 0
; COMPUTE_PGM_RSRC2:TGID_X_EN: 1
; COMPUTE_PGM_RSRC2:TGID_Y_EN: 0
; COMPUTE_PGM_RSRC2:TGID_Z_EN: 0
; COMPUTE_PGM_RSRC2:TIDIG_COMP_CNT: 0
	.section	.text._Z11fill_kernelI17hipblaslt_f8_fnuzZ21hipblaslt_init_deviceIS0_Ev8ABC_dims24hipblaslt_initializationbPT_mmmmmEUlmE_EvS5_mmT0_,"axG",@progbits,_Z11fill_kernelI17hipblaslt_f8_fnuzZ21hipblaslt_init_deviceIS0_Ev8ABC_dims24hipblaslt_initializationbPT_mmmmmEUlmE_EvS5_mmT0_,comdat
	.protected	_Z11fill_kernelI17hipblaslt_f8_fnuzZ21hipblaslt_init_deviceIS0_Ev8ABC_dims24hipblaslt_initializationbPT_mmmmmEUlmE_EvS5_mmT0_ ; -- Begin function _Z11fill_kernelI17hipblaslt_f8_fnuzZ21hipblaslt_init_deviceIS0_Ev8ABC_dims24hipblaslt_initializationbPT_mmmmmEUlmE_EvS5_mmT0_
	.globl	_Z11fill_kernelI17hipblaslt_f8_fnuzZ21hipblaslt_init_deviceIS0_Ev8ABC_dims24hipblaslt_initializationbPT_mmmmmEUlmE_EvS5_mmT0_
	.p2align	8
	.type	_Z11fill_kernelI17hipblaslt_f8_fnuzZ21hipblaslt_init_deviceIS0_Ev8ABC_dims24hipblaslt_initializationbPT_mmmmmEUlmE_EvS5_mmT0_,@function
_Z11fill_kernelI17hipblaslt_f8_fnuzZ21hipblaslt_init_deviceIS0_Ev8ABC_dims24hipblaslt_initializationbPT_mmmmmEUlmE_EvS5_mmT0_: ; @_Z11fill_kernelI17hipblaslt_f8_fnuzZ21hipblaslt_init_deviceIS0_Ev8ABC_dims24hipblaslt_initializationbPT_mmmmmEUlmE_EvS5_mmT0_
; %bb.0:
	s_clause 0x1
	s_load_b32 s2, s[0:1], 0x8c
	s_load_b128 s[4:7], s[0:1], 0x0
	s_bfe_u32 s3, ttmp6, 0x4000c
	s_and_b32 s8, ttmp6, 15
	s_add_co_i32 s3, s3, 1
	s_getreg_b32 s9, hwreg(HW_REG_IB_STS2, 6, 4)
	s_mul_i32 s3, ttmp9, s3
	v_mov_b32_e32 v1, 0
	s_add_co_i32 s8, s8, s3
	s_wait_kmcnt 0x0
	s_and_b32 s2, s2, 0xffff
	s_cmp_eq_u32 s9, 0
	s_cselect_b32 s3, ttmp9, s8
	s_delay_alu instid0(SALU_CYCLE_1) | instskip(SKIP_1) | instid1(VALU_DEP_1)
	v_mad_u32 v0, s3, s2, v0
	s_mov_b32 s2, exec_lo
	v_cmpx_gt_u64_e64 s[6:7], v[0:1]
	s_cbranch_execz .LBB44_2
; %bb.1:
	s_load_b64 s[2:3], s[0:1], 0x10
	s_wait_kmcnt 0x0
	v_add_nc_u64_e32 v[0:1], s[2:3], v[0:1]
	s_mov_b32 s2, 0x19660d
	s_delay_alu instid0(VALU_DEP_1) | instid1(SALU_CYCLE_1)
	v_mad_nc_u64_u32 v[2:3], v0, s2, 0x3c6ef35f
	s_delay_alu instid0(VALU_DEP_1) | instskip(SKIP_1) | instid1(VALU_DEP_2)
	v_mad_u32 v3, 0x19660d, v1, v3
	v_add_nc_u64_e32 v[0:1], s[4:5], v[0:1]
	v_lshlrev_b64_e32 v[4:5], 13, v[2:3]
	s_delay_alu instid0(VALU_DEP_1) | instskip(NEXT) | instid1(VALU_DEP_2)
	v_xor_b32_e32 v3, v5, v3
	v_xor_b32_e32 v2, v4, v2
	s_delay_alu instid0(VALU_DEP_1) | instskip(NEXT) | instid1(VALU_DEP_1)
	v_lshrrev_b64 v[4:5], 17, v[2:3]
	v_xor_b32_e32 v3, v5, v3
	s_delay_alu instid0(VALU_DEP_2) | instskip(NEXT) | instid1(VALU_DEP_1)
	v_xor_b32_e32 v2, v4, v2
	v_lshlrev_b64_e32 v[4:5], 5, v[2:3]
	s_delay_alu instid0(VALU_DEP_1) | instskip(NEXT) | instid1(VALU_DEP_2)
	v_xor_b32_e32 v3, v5, v3
	v_xor_b32_e32 v2, v4, v2
	s_delay_alu instid0(VALU_DEP_1) | instskip(NEXT) | instid1(VALU_DEP_1)
	v_lshlrev_b64_e32 v[4:5], 13, v[2:3]
	v_xor_b32_e32 v3, v5, v3
	s_delay_alu instid0(VALU_DEP_2) | instskip(NEXT) | instid1(VALU_DEP_1)
	v_xor_b32_e32 v2, v4, v2
	v_lshrrev_b64 v[4:5], 17, v[2:3]
	s_delay_alu instid0(VALU_DEP_1) | instskip(NEXT) | instid1(VALU_DEP_2)
	v_xor_b32_e32 v3, v5, v3
	v_xor_b32_e32 v2, v4, v2
	s_delay_alu instid0(VALU_DEP_1) | instskip(NEXT) | instid1(VALU_DEP_1)
	v_lshlrev_b64_e32 v[4:5], 5, v[2:3]
	v_xor_b32_e32 v3, v5, v3
	s_delay_alu instid0(VALU_DEP_2) | instskip(NEXT) | instid1(VALU_DEP_1)
	v_xor_b32_e32 v2, v4, v2
	v_lshlrev_b64_e32 v[4:5], 13, v[2:3]
	s_delay_alu instid0(VALU_DEP_1) | instskip(NEXT) | instid1(VALU_DEP_2)
	v_xor_b32_e32 v3, v5, v3
	v_xor_b32_e32 v2, v4, v2
	s_delay_alu instid0(VALU_DEP_1) | instskip(NEXT) | instid1(VALU_DEP_1)
	v_alignbit_b32 v3, v3, v2, 17
	v_xor_b32_e32 v2, v3, v2
	s_delay_alu instid0(VALU_DEP_1) | instskip(NEXT) | instid1(VALU_DEP_1)
	v_lshlrev_b32_e32 v3, 5, v2
	v_xor_b32_e32 v2, v3, v2
	s_delay_alu instid0(VALU_DEP_1) | instskip(NEXT) | instid1(VALU_DEP_1)
	v_mul_hi_u32 v3, 0x51eb851f, v2
	v_lshrrev_b32_e32 v3, 5, v3
	s_delay_alu instid0(VALU_DEP_1) | instskip(NEXT) | instid1(VALU_DEP_1)
	v_mul_lo_u32 v3, 0x64, v3
	v_sub_nc_u32_e32 v2, v2, v3
	global_load_u8 v2, v2, s[0:1] offset:24
	s_wait_loadcnt 0x0
	global_store_b8 v[0:1], v2, off
.LBB44_2:
	s_endpgm
	.section	.rodata,"a",@progbits
	.p2align	6, 0x0
	.amdhsa_kernel _Z11fill_kernelI17hipblaslt_f8_fnuzZ21hipblaslt_init_deviceIS0_Ev8ABC_dims24hipblaslt_initializationbPT_mmmmmEUlmE_EvS5_mmT0_
		.amdhsa_group_segment_fixed_size 0
		.amdhsa_private_segment_fixed_size 0
		.amdhsa_kernarg_size 384
		.amdhsa_user_sgpr_count 2
		.amdhsa_user_sgpr_dispatch_ptr 0
		.amdhsa_user_sgpr_queue_ptr 0
		.amdhsa_user_sgpr_kernarg_segment_ptr 1
		.amdhsa_user_sgpr_dispatch_id 0
		.amdhsa_user_sgpr_kernarg_preload_length 0
		.amdhsa_user_sgpr_kernarg_preload_offset 0
		.amdhsa_user_sgpr_private_segment_size 0
		.amdhsa_wavefront_size32 1
		.amdhsa_uses_dynamic_stack 0
		.amdhsa_enable_private_segment 0
		.amdhsa_system_sgpr_workgroup_id_x 1
		.amdhsa_system_sgpr_workgroup_id_y 0
		.amdhsa_system_sgpr_workgroup_id_z 0
		.amdhsa_system_sgpr_workgroup_info 0
		.amdhsa_system_vgpr_workitem_id 0
		.amdhsa_next_free_vgpr 6
		.amdhsa_next_free_sgpr 10
		.amdhsa_named_barrier_count 0
		.amdhsa_reserve_vcc 0
		.amdhsa_float_round_mode_32 0
		.amdhsa_float_round_mode_16_64 0
		.amdhsa_float_denorm_mode_32 3
		.amdhsa_float_denorm_mode_16_64 3
		.amdhsa_fp16_overflow 0
		.amdhsa_memory_ordered 1
		.amdhsa_forward_progress 1
		.amdhsa_inst_pref_size 4
		.amdhsa_round_robin_scheduling 0
		.amdhsa_exception_fp_ieee_invalid_op 0
		.amdhsa_exception_fp_denorm_src 0
		.amdhsa_exception_fp_ieee_div_zero 0
		.amdhsa_exception_fp_ieee_overflow 0
		.amdhsa_exception_fp_ieee_underflow 0
		.amdhsa_exception_fp_ieee_inexact 0
		.amdhsa_exception_int_div_zero 0
	.end_amdhsa_kernel
	.section	.text._Z11fill_kernelI17hipblaslt_f8_fnuzZ21hipblaslt_init_deviceIS0_Ev8ABC_dims24hipblaslt_initializationbPT_mmmmmEUlmE_EvS5_mmT0_,"axG",@progbits,_Z11fill_kernelI17hipblaslt_f8_fnuzZ21hipblaslt_init_deviceIS0_Ev8ABC_dims24hipblaslt_initializationbPT_mmmmmEUlmE_EvS5_mmT0_,comdat
.Lfunc_end44:
	.size	_Z11fill_kernelI17hipblaslt_f8_fnuzZ21hipblaslt_init_deviceIS0_Ev8ABC_dims24hipblaslt_initializationbPT_mmmmmEUlmE_EvS5_mmT0_, .Lfunc_end44-_Z11fill_kernelI17hipblaslt_f8_fnuzZ21hipblaslt_init_deviceIS0_Ev8ABC_dims24hipblaslt_initializationbPT_mmmmmEUlmE_EvS5_mmT0_
                                        ; -- End function
	.set _Z11fill_kernelI17hipblaslt_f8_fnuzZ21hipblaslt_init_deviceIS0_Ev8ABC_dims24hipblaslt_initializationbPT_mmmmmEUlmE_EvS5_mmT0_.num_vgpr, 6
	.set _Z11fill_kernelI17hipblaslt_f8_fnuzZ21hipblaslt_init_deviceIS0_Ev8ABC_dims24hipblaslt_initializationbPT_mmmmmEUlmE_EvS5_mmT0_.num_agpr, 0
	.set _Z11fill_kernelI17hipblaslt_f8_fnuzZ21hipblaslt_init_deviceIS0_Ev8ABC_dims24hipblaslt_initializationbPT_mmmmmEUlmE_EvS5_mmT0_.numbered_sgpr, 10
	.set _Z11fill_kernelI17hipblaslt_f8_fnuzZ21hipblaslt_init_deviceIS0_Ev8ABC_dims24hipblaslt_initializationbPT_mmmmmEUlmE_EvS5_mmT0_.num_named_barrier, 0
	.set _Z11fill_kernelI17hipblaslt_f8_fnuzZ21hipblaslt_init_deviceIS0_Ev8ABC_dims24hipblaslt_initializationbPT_mmmmmEUlmE_EvS5_mmT0_.private_seg_size, 0
	.set _Z11fill_kernelI17hipblaslt_f8_fnuzZ21hipblaslt_init_deviceIS0_Ev8ABC_dims24hipblaslt_initializationbPT_mmmmmEUlmE_EvS5_mmT0_.uses_vcc, 0
	.set _Z11fill_kernelI17hipblaslt_f8_fnuzZ21hipblaslt_init_deviceIS0_Ev8ABC_dims24hipblaslt_initializationbPT_mmmmmEUlmE_EvS5_mmT0_.uses_flat_scratch, 0
	.set _Z11fill_kernelI17hipblaslt_f8_fnuzZ21hipblaslt_init_deviceIS0_Ev8ABC_dims24hipblaslt_initializationbPT_mmmmmEUlmE_EvS5_mmT0_.has_dyn_sized_stack, 0
	.set _Z11fill_kernelI17hipblaslt_f8_fnuzZ21hipblaslt_init_deviceIS0_Ev8ABC_dims24hipblaslt_initializationbPT_mmmmmEUlmE_EvS5_mmT0_.has_recursion, 0
	.set _Z11fill_kernelI17hipblaslt_f8_fnuzZ21hipblaslt_init_deviceIS0_Ev8ABC_dims24hipblaslt_initializationbPT_mmmmmEUlmE_EvS5_mmT0_.has_indirect_call, 0
	.section	.AMDGPU.csdata,"",@progbits
; Kernel info:
; codeLenInByte = 392
; TotalNumSgprs: 10
; NumVgprs: 6
; ScratchSize: 0
; MemoryBound: 0
; FloatMode: 240
; IeeeMode: 1
; LDSByteSize: 0 bytes/workgroup (compile time only)
; SGPRBlocks: 0
; VGPRBlocks: 0
; NumSGPRsForWavesPerEU: 10
; NumVGPRsForWavesPerEU: 6
; NamedBarCnt: 0
; Occupancy: 16
; WaveLimiterHint : 0
; COMPUTE_PGM_RSRC2:SCRATCH_EN: 0
; COMPUTE_PGM_RSRC2:USER_SGPR: 2
; COMPUTE_PGM_RSRC2:TRAP_HANDLER: 0
; COMPUTE_PGM_RSRC2:TGID_X_EN: 1
; COMPUTE_PGM_RSRC2:TGID_Y_EN: 0
; COMPUTE_PGM_RSRC2:TGID_Z_EN: 0
; COMPUTE_PGM_RSRC2:TIDIG_COMP_CNT: 0
	.section	.text._Z11fill_kernelI17hipblaslt_f8_fnuzZ21hipblaslt_init_deviceIS0_Ev8ABC_dims24hipblaslt_initializationbPT_mmmmmEUlmE0_EvS5_mmT0_,"axG",@progbits,_Z11fill_kernelI17hipblaslt_f8_fnuzZ21hipblaslt_init_deviceIS0_Ev8ABC_dims24hipblaslt_initializationbPT_mmmmmEUlmE0_EvS5_mmT0_,comdat
	.protected	_Z11fill_kernelI17hipblaslt_f8_fnuzZ21hipblaslt_init_deviceIS0_Ev8ABC_dims24hipblaslt_initializationbPT_mmmmmEUlmE0_EvS5_mmT0_ ; -- Begin function _Z11fill_kernelI17hipblaslt_f8_fnuzZ21hipblaslt_init_deviceIS0_Ev8ABC_dims24hipblaslt_initializationbPT_mmmmmEUlmE0_EvS5_mmT0_
	.globl	_Z11fill_kernelI17hipblaslt_f8_fnuzZ21hipblaslt_init_deviceIS0_Ev8ABC_dims24hipblaslt_initializationbPT_mmmmmEUlmE0_EvS5_mmT0_
	.p2align	8
	.type	_Z11fill_kernelI17hipblaslt_f8_fnuzZ21hipblaslt_init_deviceIS0_Ev8ABC_dims24hipblaslt_initializationbPT_mmmmmEUlmE0_EvS5_mmT0_,@function
_Z11fill_kernelI17hipblaslt_f8_fnuzZ21hipblaslt_init_deviceIS0_Ev8ABC_dims24hipblaslt_initializationbPT_mmmmmEUlmE0_EvS5_mmT0_: ; @_Z11fill_kernelI17hipblaslt_f8_fnuzZ21hipblaslt_init_deviceIS0_Ev8ABC_dims24hipblaslt_initializationbPT_mmmmmEUlmE0_EvS5_mmT0_
; %bb.0:
	s_clause 0x1
	s_load_b32 s2, s[0:1], 0x2c
	s_load_b128 s[4:7], s[0:1], 0x0
	s_bfe_u32 s3, ttmp6, 0x4000c
	s_and_b32 s8, ttmp6, 15
	s_add_co_i32 s3, s3, 1
	s_getreg_b32 s9, hwreg(HW_REG_IB_STS2, 6, 4)
	s_mul_i32 s3, ttmp9, s3
	v_mov_b32_e32 v3, 0
	s_add_co_i32 s8, s8, s3
	s_wait_kmcnt 0x0
	s_and_b32 s2, s2, 0xffff
	s_cmp_eq_u32 s9, 0
	s_cselect_b32 s3, ttmp9, s8
	s_delay_alu instid0(SALU_CYCLE_1) | instskip(SKIP_1) | instid1(VALU_DEP_1)
	v_mad_u32 v2, s3, s2, v0
	s_mov_b32 s2, exec_lo
	v_cmpx_gt_u64_e64 s[6:7], v[2:3]
	s_cbranch_execz .LBB45_10
; %bb.1:
	s_load_b64 s[0:1], s[0:1], 0x10
	s_wait_kmcnt 0x0
	v_add_nc_u64_e32 v[0:1], s[0:1], v[2:3]
	s_mov_b32 s0, 0x19660d
	s_delay_alu instid0(VALU_DEP_1) | instid1(SALU_CYCLE_1)
	v_mad_nc_u64_u32 v[4:5], v0, s0, 0x3c6ef35f
	s_delay_alu instid0(VALU_DEP_1) | instskip(NEXT) | instid1(VALU_DEP_1)
	v_mad_u32 v5, 0x19660d, v1, v5
	v_lshlrev_b64_e32 v[6:7], 13, v[4:5]
	s_delay_alu instid0(VALU_DEP_1) | instskip(NEXT) | instid1(VALU_DEP_2)
	v_xor_b32_e32 v5, v7, v5
	v_xor_b32_e32 v4, v6, v4
	s_delay_alu instid0(VALU_DEP_1) | instskip(NEXT) | instid1(VALU_DEP_1)
	v_lshrrev_b64 v[6:7], 17, v[4:5]
	v_xor_b32_e32 v5, v7, v5
	s_delay_alu instid0(VALU_DEP_2) | instskip(NEXT) | instid1(VALU_DEP_1)
	v_xor_b32_e32 v4, v6, v4
	v_lshlrev_b64_e32 v[6:7], 5, v[4:5]
	s_delay_alu instid0(VALU_DEP_1) | instskip(NEXT) | instid1(VALU_DEP_2)
	v_xor_b32_e32 v5, v7, v5
	v_xor_b32_e32 v4, v6, v4
	s_delay_alu instid0(VALU_DEP_1) | instskip(NEXT) | instid1(VALU_DEP_1)
	v_lshlrev_b64_e32 v[6:7], 13, v[4:5]
	v_xor_b32_e32 v5, v7, v5
	s_delay_alu instid0(VALU_DEP_2) | instskip(NEXT) | instid1(VALU_DEP_1)
	v_xor_b32_e32 v4, v6, v4
	v_lshrrev_b64 v[6:7], 17, v[4:5]
	s_delay_alu instid0(VALU_DEP_1) | instskip(NEXT) | instid1(VALU_DEP_2)
	v_xor_b32_e32 v5, v7, v5
	v_xor_b32_e32 v4, v6, v4
	s_delay_alu instid0(VALU_DEP_1) | instskip(NEXT) | instid1(VALU_DEP_1)
	v_lshlrev_b64_e32 v[6:7], 5, v[4:5]
	v_xor_b32_e32 v5, v7, v5
	s_delay_alu instid0(VALU_DEP_2) | instskip(NEXT) | instid1(VALU_DEP_1)
	v_xor_b32_e32 v4, v6, v4
	v_lshlrev_b64_e32 v[6:7], 13, v[4:5]
	s_delay_alu instid0(VALU_DEP_1) | instskip(NEXT) | instid1(VALU_DEP_2)
	v_xor_b32_e32 v2, v7, v5
	v_xor_b32_e32 v4, v6, v4
	s_delay_alu instid0(VALU_DEP_1) | instskip(NEXT) | instid1(VALU_DEP_1)
	v_alignbit_b32 v2, v2, v4, 17
	v_xor_b32_e32 v2, v2, v4
	s_delay_alu instid0(VALU_DEP_1) | instskip(NEXT) | instid1(VALU_DEP_1)
	v_lshlrev_b32_e32 v4, 5, v2
	v_xor_b32_e32 v2, v4, v2
	s_delay_alu instid0(VALU_DEP_1) | instskip(NEXT) | instid1(VALU_DEP_1)
	v_mul_hi_u32 v4, 0xcccccccd, v2
	v_lshrrev_b32_e32 v4, 3, v4
	s_delay_alu instid0(VALU_DEP_1) | instskip(NEXT) | instid1(VALU_DEP_1)
	v_mul_lo_u32 v4, v4, 10
	v_sub_nc_u32_e32 v2, v2, v4
	s_delay_alu instid0(VALU_DEP_1) | instskip(NEXT) | instid1(VALU_DEP_1)
	v_add_nc_u32_e32 v2, 1, v2
	v_cvt_f32_u32_e32 v4, v2
	s_delay_alu instid0(VALU_DEP_1) | instskip(NEXT) | instid1(VALU_DEP_1)
	v_and_b32_e32 v2, 0x7f800000, v4
	v_cmp_ne_u64_e32 vcc_lo, 0x7f800000, v[2:3]
	v_mov_b32_e32 v2, 0x80
	s_and_saveexec_b32 s2, vcc_lo
	s_cbranch_execz .LBB45_9
; %bb.2:
	v_mov_b32_e32 v2, 0x7f
	s_mov_b32 s3, exec_lo
	v_cmpx_gt_u32_e32 0x43700001, v4
	s_cbranch_execz .LBB45_8
; %bb.3:
	v_lshrrev_b32_e32 v10, 23, v4
	v_and_b32_e32 v5, 0x7fffff, v4
	v_cmp_gt_u32_e32 vcc_lo, 0x800000, v4
	s_delay_alu instid0(VALU_DEP_3) | instskip(NEXT) | instid1(VALU_DEP_1)
	v_sub_nc_u32_e64 v2, 0x78, v10 clamp
	v_cndmask_b32_e64 v11, v2, 0x77, vcc_lo
	s_delay_alu instid0(VALU_DEP_4) | instskip(NEXT) | instid1(VALU_DEP_2)
	v_or_b32_e32 v2, 0x800000, v5
	v_dual_mov_b32 v3, 0 :: v_dual_add_nc_u32 v4, 20, v11
	s_delay_alu instid0(VALU_DEP_2) | instskip(NEXT) | instid1(VALU_DEP_2)
	v_cndmask_b32_e32 v2, v2, v5, vcc_lo
	v_lshlrev_b64_e64 v[4:5], v4, -1
	s_delay_alu instid0(VALU_DEP_2) | instskip(SKIP_2) | instid1(VALU_DEP_2)
	v_lshrrev_b64 v[8:9], v11, v[2:3]
	v_add_nc_u32_e32 v6, 19, v11
	v_add_nc_u32_e32 v9, 0xffffff89, v10
	v_lshlrev_b64_e64 v[6:7], v6, 1
	v_bfi_b32 v5, v5, 0, 0
	v_bfi_b32 v4, v4, 0, v2
	v_and_b32_e32 v2, 0x100000, v8
	s_delay_alu instid0(VALU_DEP_2) | instskip(NEXT) | instid1(VALU_DEP_2)
	v_cmp_eq_u64_e64 s0, v[4:5], v[6:7]
	v_cmp_eq_u64_e64 s1, 0, v[2:3]
	v_cndmask_b32_e64 v2, v9, 0xffffff8a, vcc_lo
	v_lshrrev_b32_e32 v4, 23, v8
	s_delay_alu instid0(VALU_DEP_1) | instskip(SKIP_3) | instid1(VALU_DEP_1)
	v_add3_u32 v5, v2, v11, v4
	s_and_b32 vcc_lo, s1, s0
	s_mov_b32 s0, exec_lo
	v_subrev_co_ci_u32_e64 v6, null, 0, v8, vcc_lo
                                        ; implicit-def: $vgpr4
	v_and_b32_e32 v2, 0xfffff, v6
	s_delay_alu instid0(VALU_DEP_1) | instskip(NEXT) | instid1(VALU_DEP_1)
	v_dual_add_nc_u32 v6, -1, v5 :: v_dual_add_nc_u32 v2, v2, v8
	v_cmpx_ne_u32_e32 0, v6
	s_xor_b32 s0, exec_lo, s0
	s_cbranch_execz .LBB45_5
; %bb.4:
	s_delay_alu instid0(VALU_DEP_2) | instskip(SKIP_2) | instid1(VALU_DEP_2)
	v_and_b32_e32 v8, 0x1000000, v2
	v_mov_b32_e32 v9, v3
	v_bfe_u32 v4, v2, 24, 1
	v_cmp_eq_u64_e32 vcc_lo, 0, v[8:9]
	s_delay_alu instid0(VALU_DEP_2)
	v_lshrrev_b64 v[2:3], v4, v[2:3]
	v_cndmask_b32_e32 v4, v5, v6, vcc_lo
.LBB45_5:
	s_and_not1_saveexec_b32 s0, s0
; %bb.6:
	s_delay_alu instid0(VALU_DEP_2)
	v_bfe_u32 v4, v2, 23, 1
; %bb.7:
	s_or_b32 exec_lo, exec_lo, s0
	s_delay_alu instid0(VALU_DEP_3) | instskip(NEXT) | instid1(VALU_DEP_2)
	v_lshrrev_b64 v[2:3], 20, v[2:3]
	v_cmp_gt_i32_e32 vcc_lo, 16, v4
	v_min_i32_e32 v5, 15, v4
	v_cmp_eq_u32_e64 s0, 0, v4
	s_delay_alu instid0(VALU_DEP_4) | instskip(NEXT) | instid1(VALU_DEP_3)
	v_dual_cndmask_b32 v3, 0, v3 :: v_dual_cndmask_b32 v2, 7, v2
	v_lshlrev_b32_e32 v5, 3, v5
	s_delay_alu instid0(VALU_DEP_2) | instskip(NEXT) | instid1(VALU_DEP_2)
	v_cmp_eq_u64_e32 vcc_lo, 0, v[2:3]
	v_and_or_b32 v2, v2, 7, v5
	s_and_b32 s0, s0, vcc_lo
	s_delay_alu instid0(VALU_DEP_1) | instid1(SALU_CYCLE_1)
	v_cndmask_b32_e64 v2, v2, 0, s0
.LBB45_8:
	s_or_b32 exec_lo, exec_lo, s3
.LBB45_9:
	s_delay_alu instid0(SALU_CYCLE_1)
	s_or_b32 exec_lo, exec_lo, s2
	v_add_nc_u64_e32 v[0:1], s[4:5], v[0:1]
	global_store_b8 v[0:1], v2, off
.LBB45_10:
	s_endpgm
	.section	.rodata,"a",@progbits
	.p2align	6, 0x0
	.amdhsa_kernel _Z11fill_kernelI17hipblaslt_f8_fnuzZ21hipblaslt_init_deviceIS0_Ev8ABC_dims24hipblaslt_initializationbPT_mmmmmEUlmE0_EvS5_mmT0_
		.amdhsa_group_segment_fixed_size 0
		.amdhsa_private_segment_fixed_size 0
		.amdhsa_kernarg_size 288
		.amdhsa_user_sgpr_count 2
		.amdhsa_user_sgpr_dispatch_ptr 0
		.amdhsa_user_sgpr_queue_ptr 0
		.amdhsa_user_sgpr_kernarg_segment_ptr 1
		.amdhsa_user_sgpr_dispatch_id 0
		.amdhsa_user_sgpr_kernarg_preload_length 0
		.amdhsa_user_sgpr_kernarg_preload_offset 0
		.amdhsa_user_sgpr_private_segment_size 0
		.amdhsa_wavefront_size32 1
		.amdhsa_uses_dynamic_stack 0
		.amdhsa_enable_private_segment 0
		.amdhsa_system_sgpr_workgroup_id_x 1
		.amdhsa_system_sgpr_workgroup_id_y 0
		.amdhsa_system_sgpr_workgroup_id_z 0
		.amdhsa_system_sgpr_workgroup_info 0
		.amdhsa_system_vgpr_workitem_id 0
		.amdhsa_next_free_vgpr 12
		.amdhsa_next_free_sgpr 10
		.amdhsa_named_barrier_count 0
		.amdhsa_reserve_vcc 1
		.amdhsa_float_round_mode_32 0
		.amdhsa_float_round_mode_16_64 0
		.amdhsa_float_denorm_mode_32 3
		.amdhsa_float_denorm_mode_16_64 3
		.amdhsa_fp16_overflow 0
		.amdhsa_memory_ordered 1
		.amdhsa_forward_progress 1
		.amdhsa_inst_pref_size 7
		.amdhsa_round_robin_scheduling 0
		.amdhsa_exception_fp_ieee_invalid_op 0
		.amdhsa_exception_fp_denorm_src 0
		.amdhsa_exception_fp_ieee_div_zero 0
		.amdhsa_exception_fp_ieee_overflow 0
		.amdhsa_exception_fp_ieee_underflow 0
		.amdhsa_exception_fp_ieee_inexact 0
		.amdhsa_exception_int_div_zero 0
	.end_amdhsa_kernel
	.section	.text._Z11fill_kernelI17hipblaslt_f8_fnuzZ21hipblaslt_init_deviceIS0_Ev8ABC_dims24hipblaslt_initializationbPT_mmmmmEUlmE0_EvS5_mmT0_,"axG",@progbits,_Z11fill_kernelI17hipblaslt_f8_fnuzZ21hipblaslt_init_deviceIS0_Ev8ABC_dims24hipblaslt_initializationbPT_mmmmmEUlmE0_EvS5_mmT0_,comdat
.Lfunc_end45:
	.size	_Z11fill_kernelI17hipblaslt_f8_fnuzZ21hipblaslt_init_deviceIS0_Ev8ABC_dims24hipblaslt_initializationbPT_mmmmmEUlmE0_EvS5_mmT0_, .Lfunc_end45-_Z11fill_kernelI17hipblaslt_f8_fnuzZ21hipblaslt_init_deviceIS0_Ev8ABC_dims24hipblaslt_initializationbPT_mmmmmEUlmE0_EvS5_mmT0_
                                        ; -- End function
	.set _Z11fill_kernelI17hipblaslt_f8_fnuzZ21hipblaslt_init_deviceIS0_Ev8ABC_dims24hipblaslt_initializationbPT_mmmmmEUlmE0_EvS5_mmT0_.num_vgpr, 12
	.set _Z11fill_kernelI17hipblaslt_f8_fnuzZ21hipblaslt_init_deviceIS0_Ev8ABC_dims24hipblaslt_initializationbPT_mmmmmEUlmE0_EvS5_mmT0_.num_agpr, 0
	.set _Z11fill_kernelI17hipblaslt_f8_fnuzZ21hipblaslt_init_deviceIS0_Ev8ABC_dims24hipblaslt_initializationbPT_mmmmmEUlmE0_EvS5_mmT0_.numbered_sgpr, 10
	.set _Z11fill_kernelI17hipblaslt_f8_fnuzZ21hipblaslt_init_deviceIS0_Ev8ABC_dims24hipblaslt_initializationbPT_mmmmmEUlmE0_EvS5_mmT0_.num_named_barrier, 0
	.set _Z11fill_kernelI17hipblaslt_f8_fnuzZ21hipblaslt_init_deviceIS0_Ev8ABC_dims24hipblaslt_initializationbPT_mmmmmEUlmE0_EvS5_mmT0_.private_seg_size, 0
	.set _Z11fill_kernelI17hipblaslt_f8_fnuzZ21hipblaslt_init_deviceIS0_Ev8ABC_dims24hipblaslt_initializationbPT_mmmmmEUlmE0_EvS5_mmT0_.uses_vcc, 1
	.set _Z11fill_kernelI17hipblaslt_f8_fnuzZ21hipblaslt_init_deviceIS0_Ev8ABC_dims24hipblaslt_initializationbPT_mmmmmEUlmE0_EvS5_mmT0_.uses_flat_scratch, 0
	.set _Z11fill_kernelI17hipblaslt_f8_fnuzZ21hipblaslt_init_deviceIS0_Ev8ABC_dims24hipblaslt_initializationbPT_mmmmmEUlmE0_EvS5_mmT0_.has_dyn_sized_stack, 0
	.set _Z11fill_kernelI17hipblaslt_f8_fnuzZ21hipblaslt_init_deviceIS0_Ev8ABC_dims24hipblaslt_initializationbPT_mmmmmEUlmE0_EvS5_mmT0_.has_recursion, 0
	.set _Z11fill_kernelI17hipblaslt_f8_fnuzZ21hipblaslt_init_deviceIS0_Ev8ABC_dims24hipblaslt_initializationbPT_mmmmmEUlmE0_EvS5_mmT0_.has_indirect_call, 0
	.section	.AMDGPU.csdata,"",@progbits
; Kernel info:
; codeLenInByte = 836
; TotalNumSgprs: 12
; NumVgprs: 12
; ScratchSize: 0
; MemoryBound: 0
; FloatMode: 240
; IeeeMode: 1
; LDSByteSize: 0 bytes/workgroup (compile time only)
; SGPRBlocks: 0
; VGPRBlocks: 0
; NumSGPRsForWavesPerEU: 12
; NumVGPRsForWavesPerEU: 12
; NamedBarCnt: 0
; Occupancy: 16
; WaveLimiterHint : 0
; COMPUTE_PGM_RSRC2:SCRATCH_EN: 0
; COMPUTE_PGM_RSRC2:USER_SGPR: 2
; COMPUTE_PGM_RSRC2:TRAP_HANDLER: 0
; COMPUTE_PGM_RSRC2:TGID_X_EN: 1
; COMPUTE_PGM_RSRC2:TGID_Y_EN: 0
; COMPUTE_PGM_RSRC2:TGID_Z_EN: 0
; COMPUTE_PGM_RSRC2:TIDIG_COMP_CNT: 0
	.section	.text._Z11fill_kernelI17hipblaslt_f8_fnuzZ21hipblaslt_init_deviceIS0_Ev8ABC_dims24hipblaslt_initializationbPT_mmmmmEUlmE1_EvS5_mmT0_,"axG",@progbits,_Z11fill_kernelI17hipblaslt_f8_fnuzZ21hipblaslt_init_deviceIS0_Ev8ABC_dims24hipblaslt_initializationbPT_mmmmmEUlmE1_EvS5_mmT0_,comdat
	.protected	_Z11fill_kernelI17hipblaslt_f8_fnuzZ21hipblaslt_init_deviceIS0_Ev8ABC_dims24hipblaslt_initializationbPT_mmmmmEUlmE1_EvS5_mmT0_ ; -- Begin function _Z11fill_kernelI17hipblaslt_f8_fnuzZ21hipblaslt_init_deviceIS0_Ev8ABC_dims24hipblaslt_initializationbPT_mmmmmEUlmE1_EvS5_mmT0_
	.globl	_Z11fill_kernelI17hipblaslt_f8_fnuzZ21hipblaslt_init_deviceIS0_Ev8ABC_dims24hipblaslt_initializationbPT_mmmmmEUlmE1_EvS5_mmT0_
	.p2align	8
	.type	_Z11fill_kernelI17hipblaslt_f8_fnuzZ21hipblaslt_init_deviceIS0_Ev8ABC_dims24hipblaslt_initializationbPT_mmmmmEUlmE1_EvS5_mmT0_,@function
_Z11fill_kernelI17hipblaslt_f8_fnuzZ21hipblaslt_init_deviceIS0_Ev8ABC_dims24hipblaslt_initializationbPT_mmmmmEUlmE1_EvS5_mmT0_: ; @_Z11fill_kernelI17hipblaslt_f8_fnuzZ21hipblaslt_init_deviceIS0_Ev8ABC_dims24hipblaslt_initializationbPT_mmmmmEUlmE1_EvS5_mmT0_
; %bb.0:
	s_load_b32 s2, s[0:1], 0x34
	s_bfe_u32 s12, ttmp6, 0x4000c
	s_load_b256 s[4:11], s[0:1], 0x0
	s_add_co_i32 s12, s12, 1
	s_and_b32 s3, ttmp6, 15
	s_mul_i32 s12, ttmp9, s12
	s_getreg_b32 s13, hwreg(HW_REG_IB_STS2, 6, 4)
	s_add_co_i32 s3, s3, s12
	v_mov_b32_e32 v3, 0
	s_wait_kmcnt 0x0
	s_and_b32 s2, s2, 0xffff
	s_cmp_eq_u32 s13, 0
	s_cselect_b32 s3, ttmp9, s3
	s_delay_alu instid0(SALU_CYCLE_1) | instskip(SKIP_1) | instid1(VALU_DEP_1)
	v_mad_u32 v2, s3, s2, v0
	s_mov_b32 s2, exec_lo
	v_cmpx_gt_u64_e64 s[6:7], v[2:3]
	s_cbranch_execz .LBB46_18
; %bb.1:
	v_add_nc_u64_e32 v[0:1], s[8:9], v[2:3]
	s_mov_b32 s2, 0x19660d
	v_mov_b32_e32 v8, 0x80
	s_mov_b32 s6, exec_lo
	s_delay_alu instid0(VALU_DEP_2) | instskip(SKIP_1) | instid1(VALU_DEP_1)
	v_mad_nc_u64_u32 v[4:5], v0, s2, 0x3c6ef35f
	s_load_b64 s[2:3], s[0:1], 0x20
	v_mad_u32 v5, 0x19660d, v1, v5
	s_delay_alu instid0(VALU_DEP_1) | instskip(NEXT) | instid1(VALU_DEP_1)
	v_lshlrev_b64_e32 v[6:7], 13, v[4:5]
	v_xor_b32_e32 v5, v7, v5
	s_delay_alu instid0(VALU_DEP_2) | instskip(NEXT) | instid1(VALU_DEP_1)
	v_xor_b32_e32 v4, v6, v4
	v_lshrrev_b64 v[6:7], 17, v[4:5]
	s_delay_alu instid0(VALU_DEP_1) | instskip(NEXT) | instid1(VALU_DEP_2)
	v_xor_b32_e32 v5, v7, v5
	v_xor_b32_e32 v4, v6, v4
	s_delay_alu instid0(VALU_DEP_1) | instskip(NEXT) | instid1(VALU_DEP_1)
	v_lshlrev_b64_e32 v[6:7], 5, v[4:5]
	v_xor_b32_e32 v5, v7, v5
	s_delay_alu instid0(VALU_DEP_2) | instskip(NEXT) | instid1(VALU_DEP_1)
	v_xor_b32_e32 v4, v6, v4
	v_lshlrev_b64_e32 v[6:7], 13, v[4:5]
	s_delay_alu instid0(VALU_DEP_1) | instskip(NEXT) | instid1(VALU_DEP_2)
	v_xor_b32_e32 v5, v7, v5
	v_xor_b32_e32 v4, v6, v4
	s_delay_alu instid0(VALU_DEP_1) | instskip(NEXT) | instid1(VALU_DEP_1)
	v_lshrrev_b64 v[6:7], 17, v[4:5]
	v_xor_b32_e32 v5, v7, v5
	s_delay_alu instid0(VALU_DEP_2) | instskip(NEXT) | instid1(VALU_DEP_1)
	v_xor_b32_e32 v4, v6, v4
	v_lshlrev_b64_e32 v[6:7], 5, v[4:5]
	s_delay_alu instid0(VALU_DEP_1) | instskip(NEXT) | instid1(VALU_DEP_2)
	v_xor_b32_e32 v5, v7, v5
	v_xor_b32_e32 v4, v6, v4
	s_delay_alu instid0(VALU_DEP_1) | instskip(NEXT) | instid1(VALU_DEP_1)
	v_lshlrev_b64_e32 v[6:7], 13, v[4:5]
	v_xor_b32_e32 v2, v7, v5
	s_delay_alu instid0(VALU_DEP_2) | instskip(NEXT) | instid1(VALU_DEP_1)
	v_xor_b32_e32 v4, v6, v4
	v_alignbit_b32 v2, v2, v4, 17
	s_delay_alu instid0(VALU_DEP_1) | instskip(NEXT) | instid1(VALU_DEP_1)
	v_xor_b32_e32 v2, v2, v4
	v_lshlrev_b32_e32 v4, 5, v2
	s_delay_alu instid0(VALU_DEP_1) | instskip(NEXT) | instid1(VALU_DEP_1)
	v_xor_b32_e32 v2, v4, v2
	v_mul_hi_u32 v4, 0xcccccccd, v2
	s_delay_alu instid0(VALU_DEP_1) | instskip(NEXT) | instid1(VALU_DEP_1)
	v_lshrrev_b32_e32 v4, 3, v4
	v_mul_lo_u32 v4, v4, 10
	s_delay_alu instid0(VALU_DEP_1) | instskip(NEXT) | instid1(VALU_DEP_1)
	v_sub_nc_u32_e32 v2, v2, v4
	v_add_nc_u32_e32 v2, 1, v2
	s_delay_alu instid0(VALU_DEP_1) | instskip(NEXT) | instid1(VALU_DEP_1)
	v_cvt_f32_u32_e32 v4, v2
	v_and_b32_e32 v2, 0x7f800000, v4
	s_delay_alu instid0(VALU_DEP_1)
	v_cmpx_ne_u64_e32 0x7f800000, v[2:3]
	s_cbranch_execz .LBB46_9
; %bb.2:
	v_mov_b32_e32 v8, 0x7f
	s_mov_b32 s7, exec_lo
	v_cmpx_gt_u32_e32 0x43700001, v4
	s_cbranch_execz .LBB46_8
; %bb.3:
	v_lshrrev_b32_e32 v10, 23, v4
	v_and_b32_e32 v5, 0x7fffff, v4
	v_cmp_gt_u32_e32 vcc_lo, 0x800000, v4
	s_delay_alu instid0(VALU_DEP_3) | instskip(NEXT) | instid1(VALU_DEP_1)
	v_sub_nc_u32_e64 v2, 0x78, v10 clamp
	v_cndmask_b32_e64 v11, v2, 0x77, vcc_lo
	s_delay_alu instid0(VALU_DEP_4) | instskip(NEXT) | instid1(VALU_DEP_2)
	v_or_b32_e32 v2, 0x800000, v5
	v_dual_mov_b32 v3, 0 :: v_dual_add_nc_u32 v4, 20, v11
	s_delay_alu instid0(VALU_DEP_2) | instskip(NEXT) | instid1(VALU_DEP_2)
	v_cndmask_b32_e32 v2, v2, v5, vcc_lo
	v_lshlrev_b64_e64 v[4:5], v4, -1
	s_delay_alu instid0(VALU_DEP_2) | instskip(SKIP_2) | instid1(VALU_DEP_2)
	v_lshrrev_b64 v[8:9], v11, v[2:3]
	v_add_nc_u32_e32 v6, 19, v11
	v_add_nc_u32_e32 v9, 0xffffff89, v10
	v_lshlrev_b64_e64 v[6:7], v6, 1
	v_bfi_b32 v5, v5, 0, 0
	v_bfi_b32 v4, v4, 0, v2
	v_and_b32_e32 v2, 0x100000, v8
	s_wait_xcnt 0x0
	s_delay_alu instid0(VALU_DEP_2) | instskip(NEXT) | instid1(VALU_DEP_2)
	v_cmp_eq_u64_e64 s0, v[4:5], v[6:7]
	v_cmp_eq_u64_e64 s1, 0, v[2:3]
	v_cndmask_b32_e64 v2, v9, 0xffffff8a, vcc_lo
	v_lshrrev_b32_e32 v4, 23, v8
	s_delay_alu instid0(VALU_DEP_1) | instskip(SKIP_3) | instid1(VALU_DEP_1)
	v_add3_u32 v5, v2, v11, v4
	s_and_b32 vcc_lo, s1, s0
	s_mov_b32 s0, exec_lo
	v_subrev_co_ci_u32_e64 v6, null, 0, v8, vcc_lo
                                        ; implicit-def: $vgpr4
	v_and_b32_e32 v2, 0xfffff, v6
	s_delay_alu instid0(VALU_DEP_1) | instskip(NEXT) | instid1(VALU_DEP_1)
	v_dual_add_nc_u32 v6, -1, v5 :: v_dual_add_nc_u32 v2, v2, v8
	v_cmpx_ne_u32_e32 0, v6
	s_xor_b32 s0, exec_lo, s0
	s_cbranch_execz .LBB46_5
; %bb.4:
	s_delay_alu instid0(VALU_DEP_2) | instskip(SKIP_2) | instid1(VALU_DEP_2)
	v_and_b32_e32 v8, 0x1000000, v2
	v_mov_b32_e32 v9, v3
	v_bfe_u32 v4, v2, 24, 1
	v_cmp_eq_u64_e32 vcc_lo, 0, v[8:9]
	s_delay_alu instid0(VALU_DEP_2)
	v_lshrrev_b64 v[2:3], v4, v[2:3]
	v_cndmask_b32_e32 v4, v5, v6, vcc_lo
.LBB46_5:
	s_and_not1_saveexec_b32 s0, s0
; %bb.6:
	s_delay_alu instid0(VALU_DEP_2)
	v_bfe_u32 v4, v2, 23, 1
; %bb.7:
	s_or_b32 exec_lo, exec_lo, s0
	s_delay_alu instid0(VALU_DEP_3) | instskip(NEXT) | instid1(VALU_DEP_2)
	v_lshrrev_b64 v[2:3], 20, v[2:3]
	v_cmp_gt_i32_e32 vcc_lo, 16, v4
	v_min_i32_e32 v5, 15, v4
	v_cmp_eq_u32_e64 s0, 0, v4
	s_delay_alu instid0(VALU_DEP_4) | instskip(NEXT) | instid1(VALU_DEP_3)
	v_dual_cndmask_b32 v3, 0, v3 :: v_dual_cndmask_b32 v2, 7, v2
	v_lshlrev_b32_e32 v5, 3, v5
	s_delay_alu instid0(VALU_DEP_2) | instskip(NEXT) | instid1(VALU_DEP_2)
	v_cmp_eq_u64_e32 vcc_lo, 0, v[2:3]
	v_and_or_b32 v2, v2, 7, v5
	s_and_b32 s0, s0, vcc_lo
	s_delay_alu instid0(VALU_DEP_1) | instid1(SALU_CYCLE_1)
	v_cndmask_b32_e64 v8, v2, 0, s0
.LBB46_8:
	s_or_b32 exec_lo, exec_lo, s7
.LBB46_9:
	s_delay_alu instid0(SALU_CYCLE_1) | instskip(SKIP_3) | instid1(VALU_DEP_1)
	s_or_b32 exec_lo, exec_lo, s6
	v_dual_mov_b32 v4, 0 :: v_dual_bitop2_b32 v5, s11, v1 bitop3:0x54
                                        ; implicit-def: $vgpr2_vgpr3
	s_wait_xcnt 0x0
	s_mov_b32 s0, exec_lo
	v_cmpx_ne_u64_e32 0, v[4:5]
	s_xor_b32 s1, exec_lo, s0
	s_cbranch_execz .LBB46_11
; %bb.10:
	s_cvt_f32_u32 s0, s10
	s_cvt_f32_u32 s6, s11
	s_sub_nc_u64 s[8:9], 0, s[10:11]
	s_mov_b32 s15, 0
	v_dual_mov_b32 v2, v0 :: v_dual_mov_b32 v3, v4
	s_fmamk_f32 s0, s6, 0x4f800000, s0
	v_dual_mov_b32 v6, v1 :: v_dual_mov_b32 v7, v4
	v_dual_mov_b32 v13, v4 :: v_dual_mov_b32 v5, v4
	s_delay_alu instid0(SALU_CYCLE_1) | instskip(NEXT) | instid1(TRANS32_DEP_1)
	v_s_rcp_f32 s0, s0
	s_mul_f32 s0, s0, 0x5f7ffffc
	s_delay_alu instid0(SALU_CYCLE_3) | instskip(NEXT) | instid1(SALU_CYCLE_3)
	s_mul_f32 s6, s0, 0x2f800000
	s_trunc_f32 s6, s6
	s_delay_alu instid0(SALU_CYCLE_3) | instskip(SKIP_1) | instid1(SALU_CYCLE_2)
	s_fmamk_f32 s0, s6, 0xcf800000, s0
	s_cvt_u32_f32 s7, s6
	s_cvt_u32_f32 s6, s0
	s_delay_alu instid0(SALU_CYCLE_3) | instskip(NEXT) | instid1(SALU_CYCLE_1)
	s_mul_u64 s[12:13], s[8:9], s[6:7]
	s_mul_hi_u32 s17, s6, s13
	s_mul_i32 s16, s6, s13
	s_mul_hi_u32 s14, s6, s12
	s_mul_i32 s18, s7, s12
	s_add_nc_u64 s[16:17], s[14:15], s[16:17]
	s_mul_hi_u32 s0, s7, s12
	s_mul_hi_u32 s19, s7, s13
	s_mul_i32 s12, s7, s13
	s_add_co_u32 s13, s16, s18
	s_add_co_ci_u32 s14, s17, s0
	s_add_co_ci_u32 s13, s19, 0
	s_delay_alu instid0(SALU_CYCLE_1) | instskip(NEXT) | instid1(SALU_CYCLE_1)
	s_add_nc_u64 s[12:13], s[14:15], s[12:13]
	s_add_co_u32 s6, s6, s12
	s_cselect_b32 s0, -1, 0
	s_delay_alu instid0(SALU_CYCLE_1) | instskip(SKIP_1) | instid1(SALU_CYCLE_1)
	s_cmp_lg_u32 s0, 0
	s_add_co_ci_u32 s7, s7, s13
	s_mul_u64 s[8:9], s[8:9], s[6:7]
	s_delay_alu instid0(SALU_CYCLE_1)
	s_mul_hi_u32 s13, s6, s9
	s_mul_i32 s12, s6, s9
	s_mul_hi_u32 s14, s6, s8
	s_mul_i32 s16, s7, s8
	s_add_nc_u64 s[12:13], s[14:15], s[12:13]
	s_mul_hi_u32 s0, s7, s8
	s_mul_hi_u32 s17, s7, s9
	s_mul_i32 s8, s7, s9
	s_add_co_u32 s9, s12, s16
	s_add_co_ci_u32 s14, s13, s0
	s_add_co_ci_u32 s9, s17, 0
	s_delay_alu instid0(SALU_CYCLE_1) | instskip(NEXT) | instid1(SALU_CYCLE_1)
	s_add_nc_u64 s[8:9], s[14:15], s[8:9]
	s_add_co_u32 s0, s6, s8
	s_cselect_b32 s6, -1, 0
	v_nop
	v_mul_hi_u32 v12, v0, s0
	s_cmp_lg_u32 s6, 0
	s_add_co_ci_u32 s14, s7, s9
	s_mov_b64 s[6:7], 0xffffffff
	v_mul_u64_e32 v[2:3], s[14:15], v[2:3]
	s_and_b64 s[6:7], s[0:1], s[6:7]
	s_delay_alu instid0(SALU_CYCLE_1) | instskip(SKIP_1) | instid1(VALU_DEP_3)
	v_mul_u64_e32 v[10:11], s[6:7], v[6:7]
	v_mul_u64_e32 v[6:7], s[14:15], v[6:7]
	v_add_nc_u64_e32 v[2:3], v[12:13], v[2:3]
	s_delay_alu instid0(VALU_DEP_1) | instskip(NEXT) | instid1(VALU_DEP_2)
	v_add_co_u32 v2, vcc_lo, v2, v10
	v_add_co_ci_u32_e32 v4, vcc_lo, v3, v11, vcc_lo
	s_delay_alu instid0(VALU_DEP_4) | instskip(NEXT) | instid1(VALU_DEP_1)
	v_add_co_ci_u32_e32 v7, vcc_lo, 0, v7, vcc_lo
	v_add_nc_u64_e32 v[2:3], v[4:5], v[6:7]
	s_delay_alu instid0(VALU_DEP_1) | instskip(NEXT) | instid1(VALU_DEP_1)
	v_mul_u64_e32 v[2:3], s[10:11], v[2:3]
	v_sub_nc_u32_e32 v4, v1, v3
	s_delay_alu instid0(VALU_DEP_2) | instskip(NEXT) | instid1(VALU_DEP_1)
	v_sub_co_u32 v2, vcc_lo, v0, v2
	v_sub_co_ci_u32_e64 v3, null, v1, v3, vcc_lo
	s_delay_alu instid0(VALU_DEP_3) | instskip(NEXT) | instid1(VALU_DEP_3)
	v_subrev_co_ci_u32_e64 v4, null, s11, v4, vcc_lo
	v_sub_co_u32 v5, vcc_lo, v2, s10
	v_cmp_le_u32_e64 s0, s10, v2
	s_delay_alu instid0(VALU_DEP_3) | instskip(SKIP_1) | instid1(VALU_DEP_3)
	v_subrev_co_ci_u32_e64 v6, null, 0, v4, vcc_lo
	v_subrev_co_ci_u32_e64 v4, null, s11, v4, vcc_lo
	v_cndmask_b32_e64 v7, 0, -1, s0
	v_cmp_le_u32_e64 s0, s10, v5
	v_cmp_le_u32_e32 vcc_lo, s11, v3
	s_delay_alu instid0(VALU_DEP_2) | instskip(SKIP_3) | instid1(VALU_DEP_3)
	v_cndmask_b32_e64 v9, 0, -1, s0
	v_cmp_le_u32_e64 s0, s11, v6
	v_cndmask_b32_e64 v11, 0, -1, vcc_lo
	v_cmp_eq_u32_e32 vcc_lo, s11, v6
	v_cndmask_b32_e64 v10, 0, -1, s0
	v_cmp_eq_u32_e64 s0, s11, v3
	s_delay_alu instid0(VALU_DEP_2) | instskip(SKIP_1) | instid1(VALU_DEP_1)
	v_cndmask_b32_e32 v9, v10, v9, vcc_lo
	v_sub_co_u32 v10, vcc_lo, v5, s10
	v_subrev_co_ci_u32_e64 v4, null, 0, v4, vcc_lo
	s_delay_alu instid0(VALU_DEP_3) | instskip(NEXT) | instid1(VALU_DEP_2)
	v_cmp_ne_u32_e32 vcc_lo, 0, v9
	v_dual_cndmask_b32 v7, v11, v7, s0 :: v_dual_cndmask_b32 v4, v6, v4, vcc_lo
	s_delay_alu instid0(VALU_DEP_4) | instskip(NEXT) | instid1(VALU_DEP_2)
	v_cndmask_b32_e32 v5, v5, v10, vcc_lo
	v_cmp_ne_u32_e32 vcc_lo, 0, v7
	s_delay_alu instid0(VALU_DEP_2)
	v_dual_cndmask_b32 v3, v3, v4 :: v_dual_cndmask_b32 v2, v2, v5
.LBB46_11:
	s_and_not1_saveexec_b32 s0, s1
	s_cbranch_execz .LBB46_13
; %bb.12:
	v_cvt_f32_u32_e32 v2, s10
	s_sub_co_i32 s1, 0, s10
	s_delay_alu instid0(VALU_DEP_1) | instskip(SKIP_1) | instid1(TRANS32_DEP_1)
	v_rcp_iflag_f32_e32 v2, v2
	v_nop
	v_mul_f32_e32 v2, 0x4f7ffffe, v2
	s_delay_alu instid0(VALU_DEP_1) | instskip(NEXT) | instid1(VALU_DEP_1)
	v_cvt_u32_f32_e32 v2, v2
	v_mul_lo_u32 v3, s1, v2
	s_delay_alu instid0(VALU_DEP_1) | instskip(NEXT) | instid1(VALU_DEP_1)
	v_mul_hi_u32 v3, v2, v3
	v_add_nc_u32_e32 v2, v2, v3
	s_delay_alu instid0(VALU_DEP_1) | instskip(NEXT) | instid1(VALU_DEP_1)
	v_mul_hi_u32 v2, v0, v2
	v_mul_lo_u32 v2, v2, s10
	s_delay_alu instid0(VALU_DEP_1) | instskip(NEXT) | instid1(VALU_DEP_1)
	v_sub_nc_u32_e32 v2, v0, v2
	v_subrev_nc_u32_e32 v3, s10, v2
	v_cmp_le_u32_e32 vcc_lo, s10, v2
	s_delay_alu instid0(VALU_DEP_2) | instskip(NEXT) | instid1(VALU_DEP_1)
	v_cndmask_b32_e32 v2, v2, v3, vcc_lo
	v_subrev_nc_u32_e32 v3, s10, v2
	v_cmp_le_u32_e32 vcc_lo, s10, v2
	s_delay_alu instid0(VALU_DEP_2)
	v_dual_cndmask_b32 v2, v2, v3 :: v_dual_mov_b32 v3, 0
.LBB46_13:
	s_or_b32 exec_lo, exec_lo, s0
	s_wait_kmcnt 0x0
	s_delay_alu instid0(VALU_DEP_1) | instskip(SKIP_1) | instid1(VALU_DEP_1)
	v_dual_mov_b32 v4, 0 :: v_dual_bitop2_b32 v5, s3, v3 bitop3:0x54
                                        ; implicit-def: $vgpr6_vgpr7
	s_mov_b32 s0, exec_lo
	v_cmpx_ne_u64_e32 0, v[4:5]
	s_xor_b32 s1, exec_lo, s0
	s_cbranch_execz .LBB46_15
; %bb.14:
	s_cvt_f32_u32 s0, s2
	s_cvt_f32_u32 s6, s3
	s_sub_nc_u64 s[8:9], 0, s[2:3]
	s_mov_b32 s13, 0
	v_dual_mov_b32 v6, v2 :: v_dual_mov_b32 v7, v4
	s_fmamk_f32 s0, s6, 0x4f800000, s0
	v_dual_mov_b32 v10, v3 :: v_dual_mov_b32 v11, v4
	v_dual_mov_b32 v15, v4 :: v_dual_mov_b32 v5, v4
	s_delay_alu instid0(SALU_CYCLE_1) | instskip(NEXT) | instid1(TRANS32_DEP_1)
	v_s_rcp_f32 s0, s0
	s_mul_f32 s0, s0, 0x5f7ffffc
	s_delay_alu instid0(SALU_CYCLE_3) | instskip(NEXT) | instid1(SALU_CYCLE_3)
	s_mul_f32 s6, s0, 0x2f800000
	s_trunc_f32 s6, s6
	s_delay_alu instid0(SALU_CYCLE_3) | instskip(SKIP_1) | instid1(SALU_CYCLE_2)
	s_fmamk_f32 s0, s6, 0xcf800000, s0
	s_cvt_u32_f32 s7, s6
	s_cvt_u32_f32 s6, s0
	s_delay_alu instid0(SALU_CYCLE_3) | instskip(NEXT) | instid1(SALU_CYCLE_1)
	s_mul_u64 s[10:11], s[8:9], s[6:7]
	s_mul_hi_u32 s15, s6, s11
	s_mul_i32 s14, s6, s11
	s_mul_hi_u32 s12, s6, s10
	s_mul_i32 s16, s7, s10
	s_add_nc_u64 s[14:15], s[12:13], s[14:15]
	s_mul_hi_u32 s0, s7, s10
	s_mul_hi_u32 s17, s7, s11
	s_mul_i32 s10, s7, s11
	s_add_co_u32 s11, s14, s16
	s_add_co_ci_u32 s12, s15, s0
	s_add_co_ci_u32 s11, s17, 0
	s_delay_alu instid0(SALU_CYCLE_1) | instskip(NEXT) | instid1(SALU_CYCLE_1)
	s_add_nc_u64 s[10:11], s[12:13], s[10:11]
	s_add_co_u32 s6, s6, s10
	s_cselect_b32 s0, -1, 0
	s_delay_alu instid0(SALU_CYCLE_1) | instskip(SKIP_1) | instid1(SALU_CYCLE_1)
	s_cmp_lg_u32 s0, 0
	s_add_co_ci_u32 s7, s7, s11
	s_mul_u64 s[8:9], s[8:9], s[6:7]
	s_delay_alu instid0(SALU_CYCLE_1)
	s_mul_hi_u32 s11, s6, s9
	s_mul_i32 s10, s6, s9
	s_mul_hi_u32 s12, s6, s8
	s_mul_i32 s14, s7, s8
	s_add_nc_u64 s[10:11], s[12:13], s[10:11]
	s_mul_hi_u32 s0, s7, s8
	s_mul_hi_u32 s15, s7, s9
	s_mul_i32 s8, s7, s9
	s_add_co_u32 s9, s10, s14
	s_add_co_ci_u32 s12, s11, s0
	s_add_co_ci_u32 s9, s15, 0
	s_delay_alu instid0(SALU_CYCLE_1) | instskip(NEXT) | instid1(SALU_CYCLE_1)
	s_add_nc_u64 s[8:9], s[12:13], s[8:9]
	s_add_co_u32 s0, s6, s8
	s_cselect_b32 s6, -1, 0
	v_nop
	v_mul_hi_u32 v14, v2, s0
	s_cmp_lg_u32 s6, 0
	s_add_co_ci_u32 s12, s7, s9
	s_mov_b64 s[6:7], 0xffffffff
	v_mul_u64_e32 v[6:7], s[12:13], v[6:7]
	s_and_b64 s[6:7], s[0:1], s[6:7]
	s_delay_alu instid0(SALU_CYCLE_1) | instskip(SKIP_1) | instid1(VALU_DEP_3)
	v_mul_u64_e32 v[12:13], s[6:7], v[10:11]
	v_mul_u64_e32 v[10:11], s[12:13], v[10:11]
	v_add_nc_u64_e32 v[6:7], v[14:15], v[6:7]
	s_delay_alu instid0(VALU_DEP_1) | instskip(NEXT) | instid1(VALU_DEP_2)
	v_add_co_u32 v4, vcc_lo, v6, v12
	v_add_co_ci_u32_e32 v4, vcc_lo, v7, v13, vcc_lo
	s_delay_alu instid0(VALU_DEP_4) | instskip(NEXT) | instid1(VALU_DEP_1)
	v_add_co_ci_u32_e32 v11, vcc_lo, 0, v11, vcc_lo
	v_add_nc_u64_e32 v[4:5], v[4:5], v[10:11]
	s_delay_alu instid0(VALU_DEP_1) | instskip(SKIP_2) | instid1(VALU_DEP_3)
	v_mul_u64_e32 v[6:7], s[2:3], v[4:5]
	v_add_nc_u64_e32 v[10:11], 2, v[4:5]
	v_add_nc_u64_e32 v[12:13], 1, v[4:5]
	v_sub_nc_u32_e32 v9, v3, v7
	s_delay_alu instid0(VALU_DEP_4) | instskip(NEXT) | instid1(VALU_DEP_1)
	v_sub_co_u32 v6, vcc_lo, v2, v6
	v_sub_co_ci_u32_e64 v3, null, v3, v7, vcc_lo
	s_delay_alu instid0(VALU_DEP_3) | instskip(NEXT) | instid1(VALU_DEP_3)
	v_subrev_co_ci_u32_e64 v9, null, s3, v9, vcc_lo
	v_sub_co_u32 v5, s0, v6, s2
	s_delay_alu instid0(VALU_DEP_1) | instskip(NEXT) | instid1(VALU_DEP_2)
	v_subrev_co_ci_u32_e64 v9, null, 0, v9, s0
	v_cmp_le_u32_e32 vcc_lo, s2, v5
	v_cndmask_b32_e64 v5, 0, -1, vcc_lo
	s_delay_alu instid0(VALU_DEP_3)
	v_cmp_le_u32_e32 vcc_lo, s3, v9
	v_cndmask_b32_e64 v7, 0, -1, vcc_lo
	v_cmp_le_u32_e32 vcc_lo, s2, v6
	v_cndmask_b32_e64 v6, 0, -1, vcc_lo
	;; [unrolled: 2-line block ×3, first 2 shown]
	v_cmp_eq_u32_e32 vcc_lo, s3, v9
	v_cndmask_b32_e32 v5, v7, v5, vcc_lo
	v_cmp_eq_u32_e32 vcc_lo, s3, v3
	s_delay_alu instid0(VALU_DEP_4) | instskip(NEXT) | instid1(VALU_DEP_3)
	v_cndmask_b32_e32 v3, v11, v6, vcc_lo
	v_cmp_ne_u32_e32 vcc_lo, 0, v5
	v_cndmask_b32_e32 v5, v12, v10, vcc_lo
	s_delay_alu instid0(VALU_DEP_3) | instskip(NEXT) | instid1(VALU_DEP_2)
	v_cmp_ne_u32_e32 vcc_lo, 0, v3
	v_cndmask_b32_e32 v6, v4, v5, vcc_lo
.LBB46_15:
	s_and_not1_saveexec_b32 s0, s1
	s_cbranch_execz .LBB46_17
; %bb.16:
	v_cvt_f32_u32_e32 v3, s2
	s_sub_co_i32 s1, 0, s2
	s_delay_alu instid0(VALU_DEP_1) | instskip(SKIP_1) | instid1(TRANS32_DEP_1)
	v_rcp_iflag_f32_e32 v3, v3
	v_nop
	v_mul_f32_e32 v3, 0x4f7ffffe, v3
	s_delay_alu instid0(VALU_DEP_1) | instskip(NEXT) | instid1(VALU_DEP_1)
	v_cvt_u32_f32_e32 v3, v3
	v_mul_lo_u32 v4, s1, v3
	s_delay_alu instid0(VALU_DEP_1) | instskip(NEXT) | instid1(VALU_DEP_1)
	v_mul_hi_u32 v4, v3, v4
	v_add_nc_u32_e32 v3, v3, v4
	s_delay_alu instid0(VALU_DEP_1) | instskip(NEXT) | instid1(VALU_DEP_1)
	v_mul_hi_u32 v3, v2, v3
	v_mul_lo_u32 v4, v3, s2
	s_delay_alu instid0(VALU_DEP_1) | instskip(NEXT) | instid1(VALU_DEP_1)
	v_dual_add_nc_u32 v5, 1, v3 :: v_dual_sub_nc_u32 v4, v2, v4
	v_subrev_nc_u32_e32 v6, s2, v4
	v_cmp_le_u32_e32 vcc_lo, s2, v4
	s_delay_alu instid0(VALU_DEP_2) | instskip(NEXT) | instid1(VALU_DEP_1)
	v_dual_cndmask_b32 v4, v4, v6 :: v_dual_cndmask_b32 v3, v3, v5
	v_cmp_le_u32_e32 vcc_lo, s2, v4
	s_delay_alu instid0(VALU_DEP_2) | instskip(NEXT) | instid1(VALU_DEP_1)
	v_add_nc_u32_e32 v5, 1, v3
	v_cndmask_b32_e32 v6, v3, v5, vcc_lo
.LBB46_17:
	s_or_b32 exec_lo, exec_lo, s0
	s_delay_alu instid0(VALU_DEP_1) | instskip(SKIP_1) | instid1(VALU_DEP_2)
	v_mul_lo_u32 v3, v6, s2
	v_add_nc_u64_e32 v[0:1], s[4:5], v[0:1]
	v_sub_nc_u32_e32 v2, v2, v3
	v_xor_b32_e32 v3, 0x80, v8
	s_delay_alu instid0(VALU_DEP_2) | instskip(NEXT) | instid1(VALU_DEP_1)
	v_bitop3_b32 v2, v2, 1, v6 bitop3:0x48
	v_cmp_eq_u32_e32 vcc_lo, 0, v2
	s_delay_alu instid0(VALU_DEP_3)
	v_cndmask_b32_e32 v2, v8, v3, vcc_lo
	global_store_b8 v[0:1], v2, off
.LBB46_18:
	s_endpgm
	.section	.rodata,"a",@progbits
	.p2align	6, 0x0
	.amdhsa_kernel _Z11fill_kernelI17hipblaslt_f8_fnuzZ21hipblaslt_init_deviceIS0_Ev8ABC_dims24hipblaslt_initializationbPT_mmmmmEUlmE1_EvS5_mmT0_
		.amdhsa_group_segment_fixed_size 0
		.amdhsa_private_segment_fixed_size 0
		.amdhsa_kernarg_size 296
		.amdhsa_user_sgpr_count 2
		.amdhsa_user_sgpr_dispatch_ptr 0
		.amdhsa_user_sgpr_queue_ptr 0
		.amdhsa_user_sgpr_kernarg_segment_ptr 1
		.amdhsa_user_sgpr_dispatch_id 0
		.amdhsa_user_sgpr_kernarg_preload_length 0
		.amdhsa_user_sgpr_kernarg_preload_offset 0
		.amdhsa_user_sgpr_private_segment_size 0
		.amdhsa_wavefront_size32 1
		.amdhsa_uses_dynamic_stack 0
		.amdhsa_enable_private_segment 0
		.amdhsa_system_sgpr_workgroup_id_x 1
		.amdhsa_system_sgpr_workgroup_id_y 0
		.amdhsa_system_sgpr_workgroup_id_z 0
		.amdhsa_system_sgpr_workgroup_info 0
		.amdhsa_system_vgpr_workitem_id 0
		.amdhsa_next_free_vgpr 16
		.amdhsa_next_free_sgpr 20
		.amdhsa_named_barrier_count 0
		.amdhsa_reserve_vcc 1
		.amdhsa_float_round_mode_32 0
		.amdhsa_float_round_mode_16_64 0
		.amdhsa_float_denorm_mode_32 3
		.amdhsa_float_denorm_mode_16_64 3
		.amdhsa_fp16_overflow 0
		.amdhsa_memory_ordered 1
		.amdhsa_forward_progress 1
		.amdhsa_inst_pref_size 18
		.amdhsa_round_robin_scheduling 0
		.amdhsa_exception_fp_ieee_invalid_op 0
		.amdhsa_exception_fp_denorm_src 0
		.amdhsa_exception_fp_ieee_div_zero 0
		.amdhsa_exception_fp_ieee_overflow 0
		.amdhsa_exception_fp_ieee_underflow 0
		.amdhsa_exception_fp_ieee_inexact 0
		.amdhsa_exception_int_div_zero 0
	.end_amdhsa_kernel
	.section	.text._Z11fill_kernelI17hipblaslt_f8_fnuzZ21hipblaslt_init_deviceIS0_Ev8ABC_dims24hipblaslt_initializationbPT_mmmmmEUlmE1_EvS5_mmT0_,"axG",@progbits,_Z11fill_kernelI17hipblaslt_f8_fnuzZ21hipblaslt_init_deviceIS0_Ev8ABC_dims24hipblaslt_initializationbPT_mmmmmEUlmE1_EvS5_mmT0_,comdat
.Lfunc_end46:
	.size	_Z11fill_kernelI17hipblaslt_f8_fnuzZ21hipblaslt_init_deviceIS0_Ev8ABC_dims24hipblaslt_initializationbPT_mmmmmEUlmE1_EvS5_mmT0_, .Lfunc_end46-_Z11fill_kernelI17hipblaslt_f8_fnuzZ21hipblaslt_init_deviceIS0_Ev8ABC_dims24hipblaslt_initializationbPT_mmmmmEUlmE1_EvS5_mmT0_
                                        ; -- End function
	.set _Z11fill_kernelI17hipblaslt_f8_fnuzZ21hipblaslt_init_deviceIS0_Ev8ABC_dims24hipblaslt_initializationbPT_mmmmmEUlmE1_EvS5_mmT0_.num_vgpr, 16
	.set _Z11fill_kernelI17hipblaslt_f8_fnuzZ21hipblaslt_init_deviceIS0_Ev8ABC_dims24hipblaslt_initializationbPT_mmmmmEUlmE1_EvS5_mmT0_.num_agpr, 0
	.set _Z11fill_kernelI17hipblaslt_f8_fnuzZ21hipblaslt_init_deviceIS0_Ev8ABC_dims24hipblaslt_initializationbPT_mmmmmEUlmE1_EvS5_mmT0_.numbered_sgpr, 20
	.set _Z11fill_kernelI17hipblaslt_f8_fnuzZ21hipblaslt_init_deviceIS0_Ev8ABC_dims24hipblaslt_initializationbPT_mmmmmEUlmE1_EvS5_mmT0_.num_named_barrier, 0
	.set _Z11fill_kernelI17hipblaslt_f8_fnuzZ21hipblaslt_init_deviceIS0_Ev8ABC_dims24hipblaslt_initializationbPT_mmmmmEUlmE1_EvS5_mmT0_.private_seg_size, 0
	.set _Z11fill_kernelI17hipblaslt_f8_fnuzZ21hipblaslt_init_deviceIS0_Ev8ABC_dims24hipblaslt_initializationbPT_mmmmmEUlmE1_EvS5_mmT0_.uses_vcc, 1
	.set _Z11fill_kernelI17hipblaslt_f8_fnuzZ21hipblaslt_init_deviceIS0_Ev8ABC_dims24hipblaslt_initializationbPT_mmmmmEUlmE1_EvS5_mmT0_.uses_flat_scratch, 0
	.set _Z11fill_kernelI17hipblaslt_f8_fnuzZ21hipblaslt_init_deviceIS0_Ev8ABC_dims24hipblaslt_initializationbPT_mmmmmEUlmE1_EvS5_mmT0_.has_dyn_sized_stack, 0
	.set _Z11fill_kernelI17hipblaslt_f8_fnuzZ21hipblaslt_init_deviceIS0_Ev8ABC_dims24hipblaslt_initializationbPT_mmmmmEUlmE1_EvS5_mmT0_.has_recursion, 0
	.set _Z11fill_kernelI17hipblaslt_f8_fnuzZ21hipblaslt_init_deviceIS0_Ev8ABC_dims24hipblaslt_initializationbPT_mmmmmEUlmE1_EvS5_mmT0_.has_indirect_call, 0
	.section	.AMDGPU.csdata,"",@progbits
; Kernel info:
; codeLenInByte = 2280
; TotalNumSgprs: 22
; NumVgprs: 16
; ScratchSize: 0
; MemoryBound: 0
; FloatMode: 240
; IeeeMode: 1
; LDSByteSize: 0 bytes/workgroup (compile time only)
; SGPRBlocks: 0
; VGPRBlocks: 0
; NumSGPRsForWavesPerEU: 22
; NumVGPRsForWavesPerEU: 16
; NamedBarCnt: 0
; Occupancy: 16
; WaveLimiterHint : 0
; COMPUTE_PGM_RSRC2:SCRATCH_EN: 0
; COMPUTE_PGM_RSRC2:USER_SGPR: 2
; COMPUTE_PGM_RSRC2:TRAP_HANDLER: 0
; COMPUTE_PGM_RSRC2:TGID_X_EN: 1
; COMPUTE_PGM_RSRC2:TGID_Y_EN: 0
; COMPUTE_PGM_RSRC2:TGID_Z_EN: 0
; COMPUTE_PGM_RSRC2:TIDIG_COMP_CNT: 0
	.section	.text._Z11fill_kernelI17hipblaslt_f8_fnuzZ21hipblaslt_init_deviceIS0_Ev8ABC_dims24hipblaslt_initializationbPT_mmmmmEUlmE2_EvS5_mmT0_,"axG",@progbits,_Z11fill_kernelI17hipblaslt_f8_fnuzZ21hipblaslt_init_deviceIS0_Ev8ABC_dims24hipblaslt_initializationbPT_mmmmmEUlmE2_EvS5_mmT0_,comdat
	.protected	_Z11fill_kernelI17hipblaslt_f8_fnuzZ21hipblaslt_init_deviceIS0_Ev8ABC_dims24hipblaslt_initializationbPT_mmmmmEUlmE2_EvS5_mmT0_ ; -- Begin function _Z11fill_kernelI17hipblaslt_f8_fnuzZ21hipblaslt_init_deviceIS0_Ev8ABC_dims24hipblaslt_initializationbPT_mmmmmEUlmE2_EvS5_mmT0_
	.globl	_Z11fill_kernelI17hipblaslt_f8_fnuzZ21hipblaslt_init_deviceIS0_Ev8ABC_dims24hipblaslt_initializationbPT_mmmmmEUlmE2_EvS5_mmT0_
	.p2align	8
	.type	_Z11fill_kernelI17hipblaslt_f8_fnuzZ21hipblaslt_init_deviceIS0_Ev8ABC_dims24hipblaslt_initializationbPT_mmmmmEUlmE2_EvS5_mmT0_,@function
_Z11fill_kernelI17hipblaslt_f8_fnuzZ21hipblaslt_init_deviceIS0_Ev8ABC_dims24hipblaslt_initializationbPT_mmmmmEUlmE2_EvS5_mmT0_: ; @_Z11fill_kernelI17hipblaslt_f8_fnuzZ21hipblaslt_init_deviceIS0_Ev8ABC_dims24hipblaslt_initializationbPT_mmmmmEUlmE2_EvS5_mmT0_
; %bb.0:
	s_clause 0x1
	s_load_b32 s2, s[0:1], 0x44
	s_load_b128 s[12:15], s[0:1], 0x0
	s_bfe_u32 s3, ttmp6, 0x4000c
	s_and_b32 s4, ttmp6, 15
	s_add_co_i32 s3, s3, 1
	s_getreg_b32 s5, hwreg(HW_REG_IB_STS2, 6, 4)
	s_mul_i32 s3, ttmp9, s3
	v_mov_b32_e32 v3, 0
	s_add_co_i32 s4, s4, s3
	s_wait_kmcnt 0x0
	s_and_b32 s2, s2, 0xffff
	s_cmp_eq_u32 s5, 0
	s_cselect_b32 s3, ttmp9, s4
	s_delay_alu instid0(SALU_CYCLE_1) | instskip(SKIP_1) | instid1(VALU_DEP_1)
	v_mad_u32 v2, s3, s2, v0
	s_mov_b32 s2, exec_lo
	v_cmpx_gt_u64_e64 s[14:15], v[2:3]
	s_cbranch_execz .LBB47_26
; %bb.1:
	s_clause 0x1
	s_load_b64 s[2:3], s[0:1], 0x10
	s_load_b256 s[4:11], s[0:1], 0x18
	s_wait_xcnt 0x0
	s_mov_b32 s0, exec_lo
	v_mov_b32_e32 v4, v3
	s_wait_kmcnt 0x0
	v_add_nc_u64_e32 v[0:1], s[2:3], v[2:3]
                                        ; implicit-def: $vgpr2_vgpr3
	s_delay_alu instid0(VALU_DEP_1) | instskip(NEXT) | instid1(VALU_DEP_1)
	v_or_b32_e32 v5, s9, v1
	v_cmpx_ne_u64_e32 0, v[4:5]
	s_xor_b32 s1, exec_lo, s0
	s_cbranch_execz .LBB47_3
; %bb.2:
	s_cvt_f32_u32 s0, s8
	s_cvt_f32_u32 s2, s9
	s_sub_nc_u64 s[14:15], 0, s[8:9]
	s_mov_b32 s19, 0
	v_dual_mov_b32 v3, 0 :: v_dual_mov_b32 v2, v0
	s_fmamk_f32 s0, s2, 0x4f800000, s0
	s_delay_alu instid0(SALU_CYCLE_3) | instskip(NEXT) | instid1(TRANS32_DEP_1)
	v_s_rcp_f32 s0, s0
	s_mul_f32 s0, s0, 0x5f7ffffc
	s_delay_alu instid0(SALU_CYCLE_3) | instskip(NEXT) | instid1(SALU_CYCLE_3)
	s_mul_f32 s2, s0, 0x2f800000
	s_trunc_f32 s2, s2
	s_delay_alu instid0(SALU_CYCLE_3) | instskip(SKIP_1) | instid1(SALU_CYCLE_2)
	s_fmamk_f32 s0, s2, 0xcf800000, s0
	s_cvt_u32_f32 s3, s2
	s_cvt_u32_f32 s2, s0
	s_delay_alu instid0(SALU_CYCLE_3) | instskip(NEXT) | instid1(SALU_CYCLE_1)
	s_mul_u64 s[16:17], s[14:15], s[2:3]
	s_mul_hi_u32 s21, s2, s17
	s_mul_i32 s20, s2, s17
	s_mul_hi_u32 s18, s2, s16
	s_mul_i32 s22, s3, s16
	s_add_nc_u64 s[20:21], s[18:19], s[20:21]
	s_mul_hi_u32 s0, s3, s16
	s_mul_hi_u32 s23, s3, s17
	s_mul_i32 s16, s3, s17
	s_add_co_u32 s17, s20, s22
	s_add_co_ci_u32 s18, s21, s0
	s_add_co_ci_u32 s17, s23, 0
	s_delay_alu instid0(SALU_CYCLE_1) | instskip(NEXT) | instid1(SALU_CYCLE_1)
	s_add_nc_u64 s[16:17], s[18:19], s[16:17]
	s_add_co_u32 s2, s2, s16
	s_cselect_b32 s0, -1, 0
	s_delay_alu instid0(SALU_CYCLE_1) | instskip(SKIP_1) | instid1(SALU_CYCLE_1)
	s_cmp_lg_u32 s0, 0
	s_add_co_ci_u32 s3, s3, s17
	s_mul_u64 s[14:15], s[14:15], s[2:3]
	s_delay_alu instid0(SALU_CYCLE_1)
	s_mul_hi_u32 s17, s2, s15
	s_mul_i32 s16, s2, s15
	s_mul_hi_u32 s18, s2, s14
	s_mul_i32 s20, s3, s14
	s_add_nc_u64 s[16:17], s[18:19], s[16:17]
	s_mul_hi_u32 s0, s3, s14
	s_mul_hi_u32 s21, s3, s15
	s_mul_i32 s14, s3, s15
	s_add_co_u32 s15, s16, s20
	s_add_co_ci_u32 s18, s17, s0
	s_add_co_ci_u32 s15, s21, 0
	s_delay_alu instid0(SALU_CYCLE_1) | instskip(NEXT) | instid1(SALU_CYCLE_1)
	s_add_nc_u64 s[14:15], s[18:19], s[14:15]
	s_add_co_u32 s0, s2, s14
	s_cselect_b32 s2, -1, 0
	s_delay_alu instid0(SALU_CYCLE_1)
	s_cmp_lg_u32 s2, 0
	s_add_co_ci_u32 s18, s3, s15
	s_mov_b64 s[2:3], 0xffffffff
	v_mul_u64_e32 v[4:5], s[18:19], v[2:3]
	v_mul_hi_u32 v2, v0, s0
	s_and_b64 s[2:3], s[0:1], s[2:3]
	s_delay_alu instid0(VALU_DEP_1) | instskip(SKIP_1) | instid1(VALU_DEP_1)
	v_add_nc_u64_e32 v[4:5], v[2:3], v[4:5]
	v_mov_b32_e32 v2, v1
	v_mul_u64_e32 v[6:7], s[2:3], v[2:3]
	v_mul_u64_e32 v[8:9], s[18:19], v[2:3]
	s_delay_alu instid0(VALU_DEP_2) | instskip(NEXT) | instid1(VALU_DEP_3)
	v_add_co_u32 v2, vcc_lo, v4, v6
	v_add_co_ci_u32_e32 v2, vcc_lo, v5, v7, vcc_lo
	s_delay_alu instid0(VALU_DEP_3) | instskip(NEXT) | instid1(VALU_DEP_1)
	v_add_co_ci_u32_e32 v9, vcc_lo, 0, v9, vcc_lo
	v_add_nc_u64_e32 v[2:3], v[2:3], v[8:9]
	s_delay_alu instid0(VALU_DEP_1) | instskip(NEXT) | instid1(VALU_DEP_1)
	v_mul_u64_e32 v[4:5], s[8:9], v[2:3]
	v_sub_nc_u32_e32 v6, v1, v5
	s_delay_alu instid0(VALU_DEP_2) | instskip(NEXT) | instid1(VALU_DEP_1)
	v_sub_co_u32 v4, vcc_lo, v0, v4
	v_sub_co_ci_u32_e64 v11, null, v1, v5, vcc_lo
	s_delay_alu instid0(VALU_DEP_3) | instskip(NEXT) | instid1(VALU_DEP_3)
	v_subrev_co_ci_u32_e64 v6, null, s9, v6, vcc_lo
	v_sub_co_u32 v8, s0, v4, s8
	v_cmp_le_u32_e32 vcc_lo, s8, v4
	s_delay_alu instid0(VALU_DEP_3) | instskip(NEXT) | instid1(VALU_DEP_3)
	v_subrev_co_ci_u32_e64 v9, null, 0, v6, s0
	v_cmp_le_u32_e64 s0, s8, v8
	v_add_nc_u64_e32 v[6:7], 2, v[2:3]
	v_cndmask_b32_e64 v12, 0, -1, vcc_lo
	s_delay_alu instid0(VALU_DEP_4) | instskip(SKIP_3) | instid1(VALU_DEP_1)
	v_cmp_eq_u32_e32 vcc_lo, s9, v9
	v_add_nc_u64_e32 v[4:5], 1, v[2:3]
	v_cndmask_b32_e64 v8, 0, -1, s0
	v_cmp_le_u32_e64 s0, s9, v9
	v_cndmask_b32_e64 v10, 0, -1, s0
	v_cmp_eq_u32_e64 s0, s9, v11
	s_delay_alu instid0(VALU_DEP_2) | instskip(SKIP_2) | instid1(VALU_DEP_3)
	v_cndmask_b32_e32 v8, v10, v8, vcc_lo
	v_cmp_le_u32_e32 vcc_lo, s9, v11
	v_cndmask_b32_e64 v9, 0, -1, vcc_lo
	v_cmp_ne_u32_e32 vcc_lo, 0, v8
	s_delay_alu instid0(VALU_DEP_2) | instskip(SKIP_1) | instid1(VALU_DEP_2)
	v_dual_cndmask_b32 v8, v9, v12, s0 :: v_dual_cndmask_b32 v4, v4, v6, vcc_lo
	v_cndmask_b32_e32 v5, v5, v7, vcc_lo
	v_cmp_ne_u32_e32 vcc_lo, 0, v8
	s_delay_alu instid0(VALU_DEP_2)
	v_dual_cndmask_b32 v3, v3, v5 :: v_dual_cndmask_b32 v2, v2, v4
.LBB47_3:
	s_and_not1_saveexec_b32 s0, s1
	s_cbranch_execz .LBB47_5
; %bb.4:
	v_cvt_f32_u32_e32 v2, s8
	s_sub_co_i32 s1, 0, s8
	s_delay_alu instid0(VALU_DEP_1) | instskip(SKIP_1) | instid1(TRANS32_DEP_1)
	v_rcp_iflag_f32_e32 v2, v2
	v_nop
	v_mul_f32_e32 v2, 0x4f7ffffe, v2
	s_delay_alu instid0(VALU_DEP_1) | instskip(NEXT) | instid1(VALU_DEP_1)
	v_cvt_u32_f32_e32 v2, v2
	v_mul_lo_u32 v3, s1, v2
	s_delay_alu instid0(VALU_DEP_1) | instskip(NEXT) | instid1(VALU_DEP_1)
	v_mul_hi_u32 v3, v2, v3
	v_add_nc_u32_e32 v2, v2, v3
	s_delay_alu instid0(VALU_DEP_1) | instskip(NEXT) | instid1(VALU_DEP_1)
	v_mul_hi_u32 v2, v0, v2
	v_mul_lo_u32 v3, v2, s8
	s_delay_alu instid0(VALU_DEP_1) | instskip(NEXT) | instid1(VALU_DEP_1)
	v_dual_add_nc_u32 v4, 1, v2 :: v_dual_sub_nc_u32 v3, v0, v3
	v_subrev_nc_u32_e32 v5, s8, v3
	v_cmp_le_u32_e32 vcc_lo, s8, v3
	s_delay_alu instid0(VALU_DEP_2) | instskip(NEXT) | instid1(VALU_DEP_1)
	v_dual_cndmask_b32 v3, v3, v5 :: v_dual_cndmask_b32 v2, v2, v4
	v_cmp_le_u32_e32 vcc_lo, s8, v3
	s_delay_alu instid0(VALU_DEP_2) | instskip(NEXT) | instid1(VALU_DEP_1)
	v_dual_mov_b32 v3, 0 :: v_dual_add_nc_u32 v4, 1, v2
	v_cndmask_b32_e32 v2, v2, v4, vcc_lo
.LBB47_5:
	s_or_b32 exec_lo, exec_lo, s0
	s_delay_alu instid0(VALU_DEP_1) | instskip(SKIP_2) | instid1(VALU_DEP_2)
	v_mul_u64_e32 v[4:5], s[8:9], v[2:3]
                                        ; implicit-def: $vgpr8_vgpr9
	s_mov_b32 s0, exec_lo
	v_mov_b32_e32 v6, 0
	v_sub_nc_u64_e32 v[4:5], v[0:1], v[4:5]
	s_delay_alu instid0(VALU_DEP_1) | instskip(NEXT) | instid1(VALU_DEP_1)
	v_or_b32_e32 v7, s11, v5
	v_cmpx_ne_u64_e32 0, v[6:7]
	s_xor_b32 s1, exec_lo, s0
	s_cbranch_execz .LBB47_7
; %bb.6:
	s_cvt_f32_u32 s0, s10
	s_cvt_f32_u32 s2, s11
	s_sub_nc_u64 s[8:9], 0, s[10:11]
	s_mov_b32 s17, 0
	v_dual_mov_b32 v8, v4 :: v_dual_mov_b32 v9, v6
	s_fmamk_f32 s0, s2, 0x4f800000, s0
	v_dual_mov_b32 v10, v5 :: v_dual_mov_b32 v11, v6
	v_dual_mov_b32 v15, v6 :: v_dual_mov_b32 v7, v6
	s_delay_alu instid0(SALU_CYCLE_1) | instskip(NEXT) | instid1(TRANS32_DEP_1)
	v_s_rcp_f32 s0, s0
	s_mul_f32 s0, s0, 0x5f7ffffc
	s_delay_alu instid0(SALU_CYCLE_3) | instskip(NEXT) | instid1(SALU_CYCLE_3)
	s_mul_f32 s2, s0, 0x2f800000
	s_trunc_f32 s2, s2
	s_delay_alu instid0(SALU_CYCLE_3) | instskip(SKIP_1) | instid1(SALU_CYCLE_2)
	s_fmamk_f32 s0, s2, 0xcf800000, s0
	s_cvt_u32_f32 s3, s2
	s_cvt_u32_f32 s2, s0
	s_delay_alu instid0(SALU_CYCLE_3) | instskip(NEXT) | instid1(SALU_CYCLE_1)
	s_mul_u64 s[14:15], s[8:9], s[2:3]
	s_mul_hi_u32 s19, s2, s15
	s_mul_i32 s18, s2, s15
	s_mul_hi_u32 s16, s2, s14
	s_mul_i32 s20, s3, s14
	s_add_nc_u64 s[18:19], s[16:17], s[18:19]
	s_mul_hi_u32 s0, s3, s14
	s_mul_hi_u32 s21, s3, s15
	s_mul_i32 s14, s3, s15
	s_add_co_u32 s15, s18, s20
	s_add_co_ci_u32 s16, s19, s0
	s_add_co_ci_u32 s15, s21, 0
	s_delay_alu instid0(SALU_CYCLE_1) | instskip(NEXT) | instid1(SALU_CYCLE_1)
	s_add_nc_u64 s[14:15], s[16:17], s[14:15]
	s_add_co_u32 s2, s2, s14
	s_cselect_b32 s0, -1, 0
	s_delay_alu instid0(SALU_CYCLE_1) | instskip(SKIP_1) | instid1(SALU_CYCLE_1)
	s_cmp_lg_u32 s0, 0
	s_add_co_ci_u32 s3, s3, s15
	s_mul_u64 s[8:9], s[8:9], s[2:3]
	s_delay_alu instid0(SALU_CYCLE_1)
	s_mul_hi_u32 s15, s2, s9
	s_mul_i32 s14, s2, s9
	s_mul_hi_u32 s16, s2, s8
	s_mul_i32 s18, s3, s8
	s_add_nc_u64 s[14:15], s[16:17], s[14:15]
	s_mul_hi_u32 s0, s3, s8
	s_mul_hi_u32 s19, s3, s9
	s_mul_i32 s8, s3, s9
	s_add_co_u32 s9, s14, s18
	s_add_co_ci_u32 s16, s15, s0
	s_add_co_ci_u32 s9, s19, 0
	s_delay_alu instid0(SALU_CYCLE_1) | instskip(NEXT) | instid1(SALU_CYCLE_1)
	s_add_nc_u64 s[8:9], s[16:17], s[8:9]
	s_add_co_u32 s0, s2, s8
	s_cselect_b32 s2, -1, 0
	v_nop
	v_mul_hi_u32 v14, v4, s0
	s_cmp_lg_u32 s2, 0
	s_add_co_ci_u32 s16, s3, s9
	s_mov_b64 s[2:3], 0xffffffff
	v_mul_u64_e32 v[8:9], s[16:17], v[8:9]
	s_and_b64 s[2:3], s[0:1], s[2:3]
	s_delay_alu instid0(SALU_CYCLE_1) | instskip(SKIP_1) | instid1(VALU_DEP_3)
	v_mul_u64_e32 v[12:13], s[2:3], v[10:11]
	v_mul_u64_e32 v[10:11], s[16:17], v[10:11]
	v_add_nc_u64_e32 v[8:9], v[14:15], v[8:9]
	s_delay_alu instid0(VALU_DEP_1) | instskip(NEXT) | instid1(VALU_DEP_2)
	v_add_co_u32 v6, vcc_lo, v8, v12
	v_add_co_ci_u32_e32 v6, vcc_lo, v9, v13, vcc_lo
	s_delay_alu instid0(VALU_DEP_4) | instskip(NEXT) | instid1(VALU_DEP_1)
	v_add_co_ci_u32_e32 v11, vcc_lo, 0, v11, vcc_lo
	v_add_nc_u64_e32 v[6:7], v[6:7], v[10:11]
	s_delay_alu instid0(VALU_DEP_1) | instskip(NEXT) | instid1(VALU_DEP_1)
	v_mul_u64_e32 v[8:9], s[10:11], v[6:7]
	v_sub_nc_u32_e32 v10, v5, v9
	s_delay_alu instid0(VALU_DEP_2) | instskip(NEXT) | instid1(VALU_DEP_1)
	v_sub_co_u32 v8, vcc_lo, v4, v8
	v_sub_co_ci_u32_e64 v15, null, v5, v9, vcc_lo
	s_delay_alu instid0(VALU_DEP_3) | instskip(NEXT) | instid1(VALU_DEP_3)
	v_subrev_co_ci_u32_e64 v10, null, s11, v10, vcc_lo
	v_sub_co_u32 v12, s0, v8, s10
	v_cmp_le_u32_e32 vcc_lo, s10, v8
	s_delay_alu instid0(VALU_DEP_3) | instskip(NEXT) | instid1(VALU_DEP_3)
	v_subrev_co_ci_u32_e64 v13, null, 0, v10, s0
	v_cmp_le_u32_e64 s0, s10, v12
	v_add_nc_u64_e32 v[10:11], 2, v[6:7]
	v_cndmask_b32_e64 v16, 0, -1, vcc_lo
	s_delay_alu instid0(VALU_DEP_4) | instskip(SKIP_3) | instid1(VALU_DEP_1)
	v_cmp_eq_u32_e32 vcc_lo, s11, v13
	v_add_nc_u64_e32 v[8:9], 1, v[6:7]
	v_cndmask_b32_e64 v12, 0, -1, s0
	v_cmp_le_u32_e64 s0, s11, v13
	v_cndmask_b32_e64 v14, 0, -1, s0
	v_cmp_eq_u32_e64 s0, s11, v15
	s_delay_alu instid0(VALU_DEP_2) | instskip(SKIP_2) | instid1(VALU_DEP_3)
	v_cndmask_b32_e32 v12, v14, v12, vcc_lo
	v_cmp_le_u32_e32 vcc_lo, s11, v15
	v_cndmask_b32_e64 v13, 0, -1, vcc_lo
	v_cmp_ne_u32_e32 vcc_lo, 0, v12
	s_delay_alu instid0(VALU_DEP_2) | instskip(SKIP_1) | instid1(VALU_DEP_2)
	v_dual_cndmask_b32 v12, v13, v16, s0 :: v_dual_cndmask_b32 v8, v8, v10, vcc_lo
	v_cndmask_b32_e32 v9, v9, v11, vcc_lo
	v_cmp_ne_u32_e32 vcc_lo, 0, v12
	s_delay_alu instid0(VALU_DEP_2)
	v_dual_cndmask_b32 v8, v6, v8 :: v_dual_cndmask_b32 v9, v7, v9
.LBB47_7:
	s_and_not1_saveexec_b32 s0, s1
	s_cbranch_execz .LBB47_9
; %bb.8:
	v_cvt_f32_u32_e32 v6, s10
	s_sub_co_i32 s1, 0, s10
	s_delay_alu instid0(VALU_DEP_1) | instskip(SKIP_1) | instid1(TRANS32_DEP_1)
	v_rcp_iflag_f32_e32 v6, v6
	v_nop
	v_mul_f32_e32 v6, 0x4f7ffffe, v6
	s_delay_alu instid0(VALU_DEP_1) | instskip(NEXT) | instid1(VALU_DEP_1)
	v_cvt_u32_f32_e32 v6, v6
	v_mul_lo_u32 v7, s1, v6
	s_delay_alu instid0(VALU_DEP_1) | instskip(NEXT) | instid1(VALU_DEP_1)
	v_mul_hi_u32 v7, v6, v7
	v_add_nc_u32_e32 v6, v6, v7
	s_delay_alu instid0(VALU_DEP_1) | instskip(NEXT) | instid1(VALU_DEP_1)
	v_mul_hi_u32 v6, v4, v6
	v_mul_lo_u32 v7, v6, s10
	s_delay_alu instid0(VALU_DEP_1) | instskip(NEXT) | instid1(VALU_DEP_1)
	v_dual_add_nc_u32 v8, 1, v6 :: v_dual_sub_nc_u32 v7, v4, v7
	v_subrev_nc_u32_e32 v9, s10, v7
	v_cmp_le_u32_e32 vcc_lo, s10, v7
	s_delay_alu instid0(VALU_DEP_2) | instskip(NEXT) | instid1(VALU_DEP_4)
	v_dual_cndmask_b32 v7, v7, v9, vcc_lo :: v_dual_mov_b32 v9, 0
	v_cndmask_b32_e32 v6, v6, v8, vcc_lo
	s_delay_alu instid0(VALU_DEP_2) | instskip(NEXT) | instid1(VALU_DEP_2)
	v_cmp_le_u32_e32 vcc_lo, s10, v7
	v_add_nc_u32_e32 v8, 1, v6
	s_delay_alu instid0(VALU_DEP_1)
	v_cndmask_b32_e32 v8, v6, v8, vcc_lo
.LBB47_9:
	s_or_b32 exec_lo, exec_lo, s0
	s_delay_alu instid0(VALU_DEP_1) | instskip(SKIP_1) | instid1(VALU_DEP_1)
	v_mul_u64_e32 v[6:7], s[10:11], v[8:9]
	v_mad_nc_u64_u32 v[8:9], v2, s6, v[8:9]
	v_mad_u32 v3, v3, s6, v9
	s_delay_alu instid0(VALU_DEP_1) | instskip(NEXT) | instid1(VALU_DEP_4)
	v_mad_u32 v2, v2, s7, v3
	v_sub_nc_u64_e32 v[4:5], v[4:5], v[6:7]
	s_delay_alu instid0(VALU_DEP_1) | instskip(NEXT) | instid1(VALU_DEP_1)
	v_mad_nc_u64_u32 v[4:5], v8, s4, v[4:5]
	v_mad_u32 v2, v2, s4, v5
	s_delay_alu instid0(VALU_DEP_2) | instskip(NEXT) | instid1(VALU_DEP_2)
	v_cvt_f64_u32_e32 v[6:7], v4
	v_mad_u32 v5, v8, s5, v2
                                        ; implicit-def: $vgpr8
	s_delay_alu instid0(VALU_DEP_1) | instskip(SKIP_1) | instid1(VALU_DEP_2)
	v_cvt_f64_u32_e32 v[2:3], v5
	v_cmp_lt_u64_e32 vcc_lo, 0x3fffffff, v[4:5]
                                        ; implicit-def: $vgpr4_vgpr5
	v_ldexp_f64 v[2:3], v[2:3], 32
	s_delay_alu instid0(VALU_DEP_1) | instskip(SKIP_1) | instid1(SALU_CYCLE_1)
	v_add_f64_e32 v[2:3], v[2:3], v[6:7]
                                        ; implicit-def: $vgpr6_vgpr7
	s_and_saveexec_b32 s0, vcc_lo
	s_xor_b32 s0, exec_lo, s0
	s_cbranch_execz .LBB47_11
; %bb.10:
	s_delay_alu instid0(VALU_DEP_1) | instskip(SKIP_3) | instid1(VALU_DEP_3)
	v_trig_preop_f64 v[4:5], v[2:3], 0
	v_trig_preop_f64 v[6:7], v[2:3], 1
	;; [unrolled: 1-line block ×3, first 2 shown]
	s_mov_b64 s[2:3], 0x3ff921fb54442d18
	v_dual_mul_f64 v[8:9], v[4:5], v[2:3] :: v_dual_mov_b32 v24, 0
	s_delay_alu instid0(VALU_DEP_3) | instskip(NEXT) | instid1(VALU_DEP_3)
	v_mul_f64_e32 v[10:11], v[6:7], v[2:3]
	v_mul_f64_e32 v[22:23], v[16:17], v[2:3]
	s_delay_alu instid0(VALU_DEP_3) | instskip(NEXT) | instid1(VALU_DEP_3)
	v_fma_f64 v[4:5], v[4:5], v[2:3], -v[8:9]
	v_fma_f64 v[6:7], v[6:7], v[2:3], -v[10:11]
	s_delay_alu instid0(VALU_DEP_3) | instskip(NEXT) | instid1(VALU_DEP_3)
	v_fma_f64 v[16:17], v[16:17], v[2:3], -v[22:23]
	v_add_f64_e32 v[12:13], v[10:11], v[4:5]
	s_delay_alu instid0(VALU_DEP_1) | instskip(SKIP_1) | instid1(VALU_DEP_2)
	v_add_f64_e64 v[14:15], v[12:13], -v[10:11]
	v_add_f64_e32 v[20:21], v[8:9], v[12:13]
	v_add_f64_e64 v[18:19], v[12:13], -v[14:15]
	v_add_f64_e64 v[4:5], v[4:5], -v[14:15]
	s_delay_alu instid0(VALU_DEP_3) | instskip(NEXT) | instid1(VALU_DEP_3)
	v_ldexp_f64 v[14:15], v[20:21], -2
	v_add_f64_e64 v[10:11], v[10:11], -v[18:19]
	v_add_f64_e32 v[18:19], v[22:23], v[6:7]
	s_delay_alu instid0(VALU_DEP_3) | instskip(NEXT) | instid1(VALU_DEP_3)
	v_cmp_neq_f64_e64 vcc_lo, 0x7ff00000, |v[14:15]|
	v_add_f64_e32 v[4:5], v[4:5], v[10:11]
	v_fract_f64_e32 v[10:11], v[14:15]
	s_delay_alu instid0(VALU_DEP_1) | instskip(NEXT) | instid1(VALU_DEP_1)
	v_ldexp_f64 v[10:11], v[10:11], 2
	v_dual_add_f64 v[8:9], v[20:21], -v[8:9] :: v_dual_cndmask_b32 v10, 0, v10, vcc_lo
	s_delay_alu instid0(VALU_DEP_1) | instskip(SKIP_1) | instid1(VALU_DEP_1)
	v_dual_add_f64 v[8:9], v[12:13], -v[8:9] :: v_dual_cndmask_b32 v11, 0, v11, vcc_lo
	v_add_f64_e32 v[12:13], v[18:19], v[4:5]
	v_add_f64_e32 v[14:15], v[8:9], v[12:13]
	v_add_f64_e64 v[26:27], v[12:13], -v[18:19]
	s_delay_alu instid0(VALU_DEP_2) | instskip(NEXT) | instid1(VALU_DEP_2)
	v_add_f64_e32 v[20:21], v[14:15], v[10:11]
	v_add_f64_e64 v[32:33], v[12:13], -v[26:27]
	v_add_f64_e64 v[4:5], v[4:5], -v[26:27]
	;; [unrolled: 1-line block ×3, first 2 shown]
	s_delay_alu instid0(VALU_DEP_4) | instskip(SKIP_1) | instid1(VALU_DEP_3)
	v_cmp_gt_f64_e32 vcc_lo, 0, v[20:21]
	v_add_f64_e64 v[20:21], v[18:19], -v[22:23]
	v_add_f64_e64 v[8:9], v[12:13], -v[8:9]
	v_cndmask_b32_e64 v25, 0, 0x40100000, vcc_lo
	s_delay_alu instid0(VALU_DEP_3) | instskip(SKIP_2) | instid1(VALU_DEP_4)
	v_add_f64_e64 v[30:31], v[18:19], -v[20:21]
	v_add_f64_e64 v[6:7], v[6:7], -v[20:21]
	;; [unrolled: 1-line block ×3, first 2 shown]
	v_add_f64_e32 v[10:11], v[10:11], v[24:25]
	s_delay_alu instid0(VALU_DEP_4) | instskip(NEXT) | instid1(VALU_DEP_3)
	v_add_f64_e64 v[20:21], v[22:23], -v[30:31]
	v_add_f64_e32 v[4:5], v[4:5], v[18:19]
	s_delay_alu instid0(VALU_DEP_3) | instskip(NEXT) | instid1(VALU_DEP_3)
	v_add_f64_e32 v[28:29], v[14:15], v[10:11]
	v_add_f64_e32 v[6:7], v[6:7], v[20:21]
	s_delay_alu instid0(VALU_DEP_2) | instskip(NEXT) | instid1(VALU_DEP_2)
	v_cvt_i32_f64_e32 v25, v[28:29]
	v_add_f64_e32 v[4:5], v[6:7], v[4:5]
	s_delay_alu instid0(VALU_DEP_2) | instskip(NEXT) | instid1(VALU_DEP_2)
	v_cvt_f64_i32_e32 v[26:27], v25
	v_add_f64_e32 v[4:5], v[16:17], v[4:5]
	s_delay_alu instid0(VALU_DEP_2) | instskip(NEXT) | instid1(VALU_DEP_2)
	v_add_f64_e64 v[10:11], v[10:11], -v[26:27]
	v_add_f64_e32 v[4:5], v[8:9], v[4:5]
	s_delay_alu instid0(VALU_DEP_2) | instskip(NEXT) | instid1(VALU_DEP_1)
	v_add_f64_e32 v[6:7], v[14:15], v[10:11]
	v_add_f64_e64 v[10:11], v[6:7], -v[10:11]
	v_cmp_le_f64_e32 vcc_lo, 0.5, v[6:7]
	s_delay_alu instid0(VALU_DEP_2) | instskip(SKIP_2) | instid1(VALU_DEP_1)
	v_add_f64_e64 v[10:11], v[14:15], -v[10:11]
	v_add_co_ci_u32_e64 v8, null, 0, v25, vcc_lo
	v_cndmask_b32_e64 v25, 0, 0x3ff00000, vcc_lo
	v_add_f64_e64 v[6:7], v[6:7], -v[24:25]
	s_delay_alu instid0(VALU_DEP_4) | instskip(NEXT) | instid1(VALU_DEP_1)
	v_add_f64_e32 v[4:5], v[4:5], v[10:11]
	v_add_f64_e32 v[10:11], v[6:7], v[4:5]
	s_delay_alu instid0(VALU_DEP_1) | instskip(SKIP_1) | instid1(VALU_DEP_2)
	v_mul_f64_e32 v[12:13], 0x3ff921fb54442d18, v[10:11]
	v_add_f64_e64 v[6:7], v[10:11], -v[6:7]
	v_fma_f64 v[14:15], v[10:11], s[2:3], -v[12:13]
	s_delay_alu instid0(VALU_DEP_2) | instskip(NEXT) | instid1(VALU_DEP_2)
	v_add_f64_e64 v[4:5], v[4:5], -v[6:7]
	v_fmamk_f64 v[6:7], v[10:11], 0x3c91a62633145c07, v[14:15]
	s_delay_alu instid0(VALU_DEP_1) | instskip(NEXT) | instid1(VALU_DEP_1)
	v_fmac_f64_e32 v[6:7], 0x3ff921fb54442d18, v[4:5]
	v_add_f64_e32 v[4:5], v[12:13], v[6:7]
	s_delay_alu instid0(VALU_DEP_1) | instskip(NEXT) | instid1(VALU_DEP_1)
	v_add_f64_e64 v[10:11], v[4:5], -v[12:13]
	v_add_f64_e64 v[6:7], v[6:7], -v[10:11]
.LBB47_11:
	s_and_not1_saveexec_b32 s0, s0
	s_cbranch_execz .LBB47_13
; %bb.12:
	s_delay_alu instid0(VALU_DEP_1) | instskip(NEXT) | instid1(VALU_DEP_1)
	v_mul_f64_e32 v[4:5], 0x3fe45f306dc9c883, v[2:3]
	v_rndne_f64_e32 v[8:9], v[4:5]
	s_delay_alu instid0(VALU_DEP_1) | instskip(SKIP_1) | instid1(VALU_DEP_1)
	v_mul_f64_e32 v[4:5], 0xbc91a62633145c00, v[8:9]
	v_fmamk_f64 v[6:7], v[8:9], 0xbff921fb54442d18, v[2:3]
	v_add_f64_e32 v[10:11], v[6:7], v[4:5]
	s_delay_alu instid0(VALU_DEP_1) | instskip(SKIP_1) | instid1(VALU_DEP_1)
	v_add_f64_e64 v[12:13], v[6:7], -v[10:11]
	v_fmamk_f64 v[6:7], v[8:9], 0xbc91a62633145c00, v[6:7]
	v_add_f64_e64 v[10:11], v[10:11], -v[6:7]
	s_delay_alu instid0(VALU_DEP_3) | instskip(SKIP_1) | instid1(VALU_DEP_2)
	v_add_f64_e32 v[12:13], v[12:13], v[4:5]
	v_fmamk_f64 v[4:5], v[8:9], 0x3c91a62633145c00, v[4:5]
	v_add_f64_e32 v[10:11], v[10:11], v[12:13]
	s_delay_alu instid0(VALU_DEP_1) | instskip(NEXT) | instid1(VALU_DEP_1)
	v_add_f64_e64 v[4:5], v[10:11], -v[4:5]
	v_fmamk_f64 v[10:11], v[8:9], 0xb97b839a252049c0, v[4:5]
	v_cvt_i32_f64_e32 v8, v[8:9]
	s_delay_alu instid0(VALU_DEP_2) | instskip(NEXT) | instid1(VALU_DEP_1)
	v_add_f64_e32 v[4:5], v[6:7], v[10:11]
	v_add_f64_e64 v[6:7], v[4:5], -v[6:7]
	s_delay_alu instid0(VALU_DEP_1)
	v_add_f64_e64 v[6:7], v[10:11], -v[6:7]
.LBB47_13:
	s_or_b32 exec_lo, exec_lo, s0
	v_mul_f64_e32 v[10:11], v[4:5], v[4:5]
	s_delay_alu instid0(VALU_DEP_2) | instskip(SKIP_3) | instid1(VALU_DEP_2)
	v_dual_mul_f64 v[18:19], 0.5, v[6:7] :: v_dual_lshlrev_b32 v2, 30, v8
	v_and_b32_e32 v8, 1, v8
	s_mov_b64 s[0:1], 0x3de5e0b2f9a43bb8
	s_mov_b32 s2, exec_lo
	v_bitop3_b32 v9, v2, 0x80000000, v3 bitop3:0x48
	s_delay_alu instid0(VALU_DEP_2) | instskip(SKIP_4) | instid1(VALU_DEP_3)
	v_cmp_eq_u32_e32 vcc_lo, 0, v8
	v_dual_mul_f64 v[12:13], 0.5, v[10:11] :: v_dual_mov_b32 v8, 0
	v_mul_f64_e64 v[20:21], v[4:5], -v[10:11]
	v_fmaak_f64 v[22:23], s[0:1], v[10:11], 0xbe5ae600b42fdfa7
	s_mov_b64 s[0:1], 0xbda907db46cc5e42
	v_add_f64_e64 v[14:15], -v[12:13], 1.0
	s_delay_alu instid0(VALU_DEP_1) | instskip(NEXT) | instid1(VALU_DEP_1)
	v_add_f64_e64 v[16:17], -v[14:15], 1.0
	v_add_f64_e64 v[12:13], v[16:17], -v[12:13]
	s_delay_alu instid0(VALU_DEP_4) | instskip(SKIP_1) | instid1(VALU_DEP_2)
	v_fmaak_f64 v[16:17], v[10:11], v[22:23], 0x3ec71de3796cde01
	v_mul_f64_e32 v[22:23], v[10:11], v[10:11]
	v_fmaak_f64 v[16:17], v[10:11], v[16:17], 0xbf2a01a019e83e5c
	s_delay_alu instid0(VALU_DEP_1) | instskip(NEXT) | instid1(VALU_DEP_1)
	v_fmaak_f64 v[16:17], v[10:11], v[16:17], 0x3f81111111110bb3
	v_fmac_f64_e32 v[18:19], v[20:21], v[16:17]
	v_fmaak_f64 v[16:17], s[0:1], v[10:11], 0x3e21eeb69037ab78
	s_mov_b64 s[0:1], 0x7ff0000000000000
	s_delay_alu instid0(VALU_DEP_1) | instskip(SKIP_1) | instid1(VALU_DEP_2)
	v_fmaak_f64 v[16:17], v[10:11], v[16:17], 0xbe927e4fa17f65f6
	v_fma_f64 v[12:13], v[4:5], -v[6:7], v[12:13]
	v_fmaak_f64 v[16:17], v[10:11], v[16:17], 0x3efa01a019f4ec90
	s_delay_alu instid0(VALU_DEP_1) | instskip(SKIP_1) | instid1(VALU_DEP_2)
	v_fmaak_f64 v[16:17], v[10:11], v[16:17], 0xbf56c16c16c16967
	v_fma_f64 v[6:7], v[10:11], v[18:19], -v[6:7]
	v_fmaak_f64 v[10:11], v[10:11], v[16:17], 0x3fa5555555555555
	s_delay_alu instid0(VALU_DEP_1) | instskip(NEXT) | instid1(VALU_DEP_3)
	v_fmac_f64_e32 v[12:13], v[22:23], v[10:11]
	v_fmamk_f64 v[6:7], v[20:21], 0xbfc5555555555555, v[6:7]
	s_delay_alu instid0(VALU_DEP_1) | instskip(NEXT) | instid1(VALU_DEP_3)
	v_add_f64_e64 v[4:5], v[4:5], -v[6:7]
	v_add_f64_e32 v[6:7], v[14:15], v[12:13]
	s_delay_alu instid0(VALU_DEP_1) | instskip(SKIP_1) | instid1(VALU_DEP_2)
	v_cndmask_b32_e32 v7, v7, v5, vcc_lo
	v_mov_b32_e32 v5, 0x80
	v_bitop3_b32 v9, v7, 0x7ff00000, v9 bitop3:0x48
	s_delay_alu instid0(VALU_DEP_1)
	v_cmpx_ne_u64_e64 s[0:1], v[8:9]
	s_cbranch_execz .LBB47_25
; %bb.14:
	v_xor_b32_e32 v2, v2, v3
	s_mov_b64 s[0:1], 0x406e000000000001
	s_delay_alu instid0(VALU_DEP_1) | instskip(SKIP_1) | instid1(VALU_DEP_2)
	v_bitop3_b32 v3, v7, v2, 0x80000000 bitop3:0x78
	v_cndmask_b32_e32 v2, v6, v4, vcc_lo
	v_and_b32_e32 v5, 0x7fffffff, v3
	s_delay_alu instid0(VALU_DEP_2) | instskip(NEXT) | instid1(VALU_DEP_1)
	v_mov_b32_e32 v4, v2
	v_cmp_gt_u64_e32 vcc_lo, s[0:1], v[4:5]
                                        ; implicit-def: $vgpr5
	s_and_saveexec_b32 s0, vcc_lo
	s_delay_alu instid0(SALU_CYCLE_1)
	s_xor_b32 s3, exec_lo, s0
	s_cbranch_execz .LBB47_22
; %bb.15:
	v_mov_b32_e32 v5, 0
	s_mov_b32 s4, exec_lo
	v_cmpx_ne_u64_e32 0, v[2:3]
	s_cbranch_execz .LBB47_21
; %bb.16:
	v_bfe_u32 v14, v3, 20, 11
	v_and_b32_e32 v5, 0xfffff, v3
	s_mov_b32 s5, 0
	s_delay_alu instid0(VALU_DEP_2) | instskip(SKIP_1) | instid1(VALU_DEP_3)
	v_sub_nc_u32_e64 v4, 0x3f8, v14 clamp
	v_cmp_eq_u32_e32 vcc_lo, 0, v14
	v_or_b32_e32 v6, 0x100000, v5
	s_delay_alu instid0(VALU_DEP_3) | instskip(SKIP_1) | instid1(VALU_DEP_2)
	v_cndmask_b32_e64 v15, v4, 0x3f7, vcc_lo
	v_mov_b32_e32 v4, v2
	v_dual_cndmask_b32 v5, v6, v5, vcc_lo :: v_dual_add_nc_u32 v7, 48, v15
	v_add_nc_u32_e32 v6, 49, v15
	s_delay_alu instid0(VALU_DEP_2) | instskip(NEXT) | instid1(VALU_DEP_3)
	v_lshrrev_b64 v[10:11], v15, v[4:5]
	v_lshlrev_b64_e64 v[12:13], v7, 1
	s_delay_alu instid0(VALU_DEP_3) | instskip(SKIP_1) | instid1(VALU_DEP_4)
	v_lshlrev_b64_e64 v[8:9], v6, -1
	v_mov_b32_e32 v6, 0
	v_and_b32_e32 v7, 0x20000, v11
	s_delay_alu instid0(VALU_DEP_3) | instskip(NEXT) | instid1(VALU_DEP_4)
	v_bfi_b32 v5, v9, 0, v5
	v_bfi_b32 v4, v8, 0, v2
	v_add_nc_u32_e32 v2, 0xfffffc09, v14
	s_delay_alu instid0(VALU_DEP_2) | instskip(SKIP_2) | instid1(VALU_DEP_4)
	v_cmp_eq_u64_e64 s1, v[4:5], v[12:13]
	v_mov_b32_e32 v5, s5
	v_cmp_eq_u64_e64 s0, 0, v[6:7]
	v_cndmask_b32_e64 v2, v2, 0xfffffc0a, vcc_lo
	v_lshrrev_b32_e32 v7, 20, v11
	s_and_b32 s0, s0, s1
	s_delay_alu instid0(VALU_DEP_1) | instskip(SKIP_2) | instid1(VALU_DEP_2)
	v_add3_u32 v8, v2, v15, v7
	v_cndmask_b32_e64 v4, 0, 1, s0
	s_mov_b32 s0, exec_lo
                                        ; implicit-def: $vgpr2
	v_add_nc_u32_e32 v9, -1, v8
	s_delay_alu instid0(VALU_DEP_2) | instskip(NEXT) | instid1(VALU_DEP_1)
	v_sub_nc_u64_e32 v[4:5], v[10:11], v[4:5]
	v_and_b32_e32 v5, 0x1ffff, v5
	s_delay_alu instid0(VALU_DEP_1) | instskip(NEXT) | instid1(VALU_DEP_4)
	v_add_nc_u64_e32 v[4:5], v[4:5], v[10:11]
	v_cmpx_ne_u32_e32 0, v9
	s_xor_b32 s0, exec_lo, s0
; %bb.17:
	s_delay_alu instid0(VALU_DEP_2) | instskip(SKIP_1) | instid1(VALU_DEP_2)
	v_and_b32_e32 v7, 0x200000, v5
	v_bfe_u32 v2, v5, 21, 1
	v_cmp_eq_u64_e32 vcc_lo, 0, v[6:7]
	s_delay_alu instid0(VALU_DEP_2)
	v_lshrrev_b64 v[4:5], v2, v[4:5]
	v_cndmask_b32_e32 v2, v8, v9, vcc_lo
; %bb.18:
	s_and_not1_saveexec_b32 s0, s0
; %bb.19:
	s_delay_alu instid0(VALU_DEP_2)
	v_bfe_u32 v2, v5, 20, 1
; %bb.20:
	s_or_b32 exec_lo, exec_lo, s0
	v_dual_lshrrev_b32 v3, 24, v3 :: v_dual_lshrrev_b32 v4, 17, v5
	s_delay_alu instid0(VALU_DEP_2) | instskip(SKIP_1) | instid1(VALU_DEP_3)
	v_cmp_gt_i32_e32 vcc_lo, 16, v2
	v_dual_mov_b32 v5, 0 :: v_dual_min_i32 v6, 15, v2
	v_and_b32_e32 v3, 0x80, v3
	v_cmp_eq_u32_e64 s0, 0, v2
	v_cndmask_b32_e32 v4, 7, v4, vcc_lo
	s_delay_alu instid0(VALU_DEP_3) | instskip(NEXT) | instid1(VALU_DEP_2)
	v_lshl_or_b32 v3, v6, 3, v3
	v_cmp_eq_u64_e32 vcc_lo, 0, v[4:5]
	s_delay_alu instid0(VALU_DEP_2)
	v_and_or_b32 v2, v4, 7, v3
	s_and_b32 s0, s0, vcc_lo
	s_delay_alu instid0(VALU_DEP_1) | instid1(SALU_CYCLE_1)
	v_cndmask_b32_e64 v5, v2, 0, s0
.LBB47_21:
	s_or_b32 exec_lo, exec_lo, s4
                                        ; implicit-def: $vgpr2_vgpr3
.LBB47_22:
	s_and_not1_saveexec_b32 s0, s3
; %bb.23:
	v_lshrrev_b32_e32 v2, 24, v3
	s_delay_alu instid0(VALU_DEP_1)
	v_or_b32_e32 v5, 0x7f, v2
; %bb.24:
	s_or_b32 exec_lo, exec_lo, s0
.LBB47_25:
	s_delay_alu instid0(SALU_CYCLE_1)
	s_or_b32 exec_lo, exec_lo, s2
	v_add_nc_u64_e32 v[0:1], s[12:13], v[0:1]
	global_store_b8 v[0:1], v5, off
.LBB47_26:
	s_endpgm
	.section	.rodata,"a",@progbits
	.p2align	6, 0x0
	.amdhsa_kernel _Z11fill_kernelI17hipblaslt_f8_fnuzZ21hipblaslt_init_deviceIS0_Ev8ABC_dims24hipblaslt_initializationbPT_mmmmmEUlmE2_EvS5_mmT0_
		.amdhsa_group_segment_fixed_size 0
		.amdhsa_private_segment_fixed_size 0
		.amdhsa_kernarg_size 312
		.amdhsa_user_sgpr_count 2
		.amdhsa_user_sgpr_dispatch_ptr 0
		.amdhsa_user_sgpr_queue_ptr 0
		.amdhsa_user_sgpr_kernarg_segment_ptr 1
		.amdhsa_user_sgpr_dispatch_id 0
		.amdhsa_user_sgpr_kernarg_preload_length 0
		.amdhsa_user_sgpr_kernarg_preload_offset 0
		.amdhsa_user_sgpr_private_segment_size 0
		.amdhsa_wavefront_size32 1
		.amdhsa_uses_dynamic_stack 0
		.amdhsa_enable_private_segment 0
		.amdhsa_system_sgpr_workgroup_id_x 1
		.amdhsa_system_sgpr_workgroup_id_y 0
		.amdhsa_system_sgpr_workgroup_id_z 0
		.amdhsa_system_sgpr_workgroup_info 0
		.amdhsa_system_vgpr_workitem_id 0
		.amdhsa_next_free_vgpr 34
		.amdhsa_next_free_sgpr 24
		.amdhsa_named_barrier_count 0
		.amdhsa_reserve_vcc 1
		.amdhsa_float_round_mode_32 0
		.amdhsa_float_round_mode_16_64 0
		.amdhsa_float_denorm_mode_32 3
		.amdhsa_float_denorm_mode_16_64 3
		.amdhsa_fp16_overflow 0
		.amdhsa_memory_ordered 1
		.amdhsa_forward_progress 1
		.amdhsa_inst_pref_size 26
		.amdhsa_round_robin_scheduling 0
		.amdhsa_exception_fp_ieee_invalid_op 0
		.amdhsa_exception_fp_denorm_src 0
		.amdhsa_exception_fp_ieee_div_zero 0
		.amdhsa_exception_fp_ieee_overflow 0
		.amdhsa_exception_fp_ieee_underflow 0
		.amdhsa_exception_fp_ieee_inexact 0
		.amdhsa_exception_int_div_zero 0
	.end_amdhsa_kernel
	.section	.text._Z11fill_kernelI17hipblaslt_f8_fnuzZ21hipblaslt_init_deviceIS0_Ev8ABC_dims24hipblaslt_initializationbPT_mmmmmEUlmE2_EvS5_mmT0_,"axG",@progbits,_Z11fill_kernelI17hipblaslt_f8_fnuzZ21hipblaslt_init_deviceIS0_Ev8ABC_dims24hipblaslt_initializationbPT_mmmmmEUlmE2_EvS5_mmT0_,comdat
.Lfunc_end47:
	.size	_Z11fill_kernelI17hipblaslt_f8_fnuzZ21hipblaslt_init_deviceIS0_Ev8ABC_dims24hipblaslt_initializationbPT_mmmmmEUlmE2_EvS5_mmT0_, .Lfunc_end47-_Z11fill_kernelI17hipblaslt_f8_fnuzZ21hipblaslt_init_deviceIS0_Ev8ABC_dims24hipblaslt_initializationbPT_mmmmmEUlmE2_EvS5_mmT0_
                                        ; -- End function
	.set _Z11fill_kernelI17hipblaslt_f8_fnuzZ21hipblaslt_init_deviceIS0_Ev8ABC_dims24hipblaslt_initializationbPT_mmmmmEUlmE2_EvS5_mmT0_.num_vgpr, 34
	.set _Z11fill_kernelI17hipblaslt_f8_fnuzZ21hipblaslt_init_deviceIS0_Ev8ABC_dims24hipblaslt_initializationbPT_mmmmmEUlmE2_EvS5_mmT0_.num_agpr, 0
	.set _Z11fill_kernelI17hipblaslt_f8_fnuzZ21hipblaslt_init_deviceIS0_Ev8ABC_dims24hipblaslt_initializationbPT_mmmmmEUlmE2_EvS5_mmT0_.numbered_sgpr, 24
	.set _Z11fill_kernelI17hipblaslt_f8_fnuzZ21hipblaslt_init_deviceIS0_Ev8ABC_dims24hipblaslt_initializationbPT_mmmmmEUlmE2_EvS5_mmT0_.num_named_barrier, 0
	.set _Z11fill_kernelI17hipblaslt_f8_fnuzZ21hipblaslt_init_deviceIS0_Ev8ABC_dims24hipblaslt_initializationbPT_mmmmmEUlmE2_EvS5_mmT0_.private_seg_size, 0
	.set _Z11fill_kernelI17hipblaslt_f8_fnuzZ21hipblaslt_init_deviceIS0_Ev8ABC_dims24hipblaslt_initializationbPT_mmmmmEUlmE2_EvS5_mmT0_.uses_vcc, 1
	.set _Z11fill_kernelI17hipblaslt_f8_fnuzZ21hipblaslt_init_deviceIS0_Ev8ABC_dims24hipblaslt_initializationbPT_mmmmmEUlmE2_EvS5_mmT0_.uses_flat_scratch, 0
	.set _Z11fill_kernelI17hipblaslt_f8_fnuzZ21hipblaslt_init_deviceIS0_Ev8ABC_dims24hipblaslt_initializationbPT_mmmmmEUlmE2_EvS5_mmT0_.has_dyn_sized_stack, 0
	.set _Z11fill_kernelI17hipblaslt_f8_fnuzZ21hipblaslt_init_deviceIS0_Ev8ABC_dims24hipblaslt_initializationbPT_mmmmmEUlmE2_EvS5_mmT0_.has_recursion, 0
	.set _Z11fill_kernelI17hipblaslt_f8_fnuzZ21hipblaslt_init_deviceIS0_Ev8ABC_dims24hipblaslt_initializationbPT_mmmmmEUlmE2_EvS5_mmT0_.has_indirect_call, 0
	.section	.AMDGPU.csdata,"",@progbits
; Kernel info:
; codeLenInByte = 3328
; TotalNumSgprs: 26
; NumVgprs: 34
; ScratchSize: 0
; MemoryBound: 0
; FloatMode: 240
; IeeeMode: 1
; LDSByteSize: 0 bytes/workgroup (compile time only)
; SGPRBlocks: 0
; VGPRBlocks: 2
; NumSGPRsForWavesPerEU: 26
; NumVGPRsForWavesPerEU: 34
; NamedBarCnt: 0
; Occupancy: 16
; WaveLimiterHint : 0
; COMPUTE_PGM_RSRC2:SCRATCH_EN: 0
; COMPUTE_PGM_RSRC2:USER_SGPR: 2
; COMPUTE_PGM_RSRC2:TRAP_HANDLER: 0
; COMPUTE_PGM_RSRC2:TGID_X_EN: 1
; COMPUTE_PGM_RSRC2:TGID_Y_EN: 0
; COMPUTE_PGM_RSRC2:TGID_Z_EN: 0
; COMPUTE_PGM_RSRC2:TIDIG_COMP_CNT: 0
	.section	.text._Z11fill_kernelI17hipblaslt_f8_fnuzZ21hipblaslt_init_deviceIS0_Ev8ABC_dims24hipblaslt_initializationbPT_mmmmmEUlmE3_EvS5_mmT0_,"axG",@progbits,_Z11fill_kernelI17hipblaslt_f8_fnuzZ21hipblaslt_init_deviceIS0_Ev8ABC_dims24hipblaslt_initializationbPT_mmmmmEUlmE3_EvS5_mmT0_,comdat
	.protected	_Z11fill_kernelI17hipblaslt_f8_fnuzZ21hipblaslt_init_deviceIS0_Ev8ABC_dims24hipblaslt_initializationbPT_mmmmmEUlmE3_EvS5_mmT0_ ; -- Begin function _Z11fill_kernelI17hipblaslt_f8_fnuzZ21hipblaslt_init_deviceIS0_Ev8ABC_dims24hipblaslt_initializationbPT_mmmmmEUlmE3_EvS5_mmT0_
	.globl	_Z11fill_kernelI17hipblaslt_f8_fnuzZ21hipblaslt_init_deviceIS0_Ev8ABC_dims24hipblaslt_initializationbPT_mmmmmEUlmE3_EvS5_mmT0_
	.p2align	8
	.type	_Z11fill_kernelI17hipblaslt_f8_fnuzZ21hipblaslt_init_deviceIS0_Ev8ABC_dims24hipblaslt_initializationbPT_mmmmmEUlmE3_EvS5_mmT0_,@function
_Z11fill_kernelI17hipblaslt_f8_fnuzZ21hipblaslt_init_deviceIS0_Ev8ABC_dims24hipblaslt_initializationbPT_mmmmmEUlmE3_EvS5_mmT0_: ; @_Z11fill_kernelI17hipblaslt_f8_fnuzZ21hipblaslt_init_deviceIS0_Ev8ABC_dims24hipblaslt_initializationbPT_mmmmmEUlmE3_EvS5_mmT0_
; %bb.0:
	s_clause 0x1
	s_load_b32 s2, s[0:1], 0x44
	s_load_b128 s[12:15], s[0:1], 0x0
	s_bfe_u32 s3, ttmp6, 0x4000c
	s_and_b32 s4, ttmp6, 15
	s_add_co_i32 s3, s3, 1
	s_getreg_b32 s5, hwreg(HW_REG_IB_STS2, 6, 4)
	s_mul_i32 s3, ttmp9, s3
	v_mov_b32_e32 v3, 0
	s_add_co_i32 s4, s4, s3
	s_wait_kmcnt 0x0
	s_and_b32 s2, s2, 0xffff
	s_cmp_eq_u32 s5, 0
	s_cselect_b32 s3, ttmp9, s4
	s_delay_alu instid0(SALU_CYCLE_1) | instskip(SKIP_1) | instid1(VALU_DEP_1)
	v_mad_u32 v2, s3, s2, v0
	s_mov_b32 s2, exec_lo
	v_cmpx_gt_u64_e64 s[14:15], v[2:3]
	s_cbranch_execz .LBB48_26
; %bb.1:
	s_clause 0x1
	s_load_b64 s[2:3], s[0:1], 0x10
	s_load_b256 s[4:11], s[0:1], 0x18
	s_wait_xcnt 0x0
	s_mov_b32 s0, exec_lo
	v_mov_b32_e32 v4, v3
	s_wait_kmcnt 0x0
	v_add_nc_u64_e32 v[0:1], s[2:3], v[2:3]
                                        ; implicit-def: $vgpr2_vgpr3
	s_delay_alu instid0(VALU_DEP_1) | instskip(NEXT) | instid1(VALU_DEP_1)
	v_or_b32_e32 v5, s9, v1
	v_cmpx_ne_u64_e32 0, v[4:5]
	s_xor_b32 s1, exec_lo, s0
	s_cbranch_execz .LBB48_3
; %bb.2:
	s_cvt_f32_u32 s0, s8
	s_cvt_f32_u32 s2, s9
	s_sub_nc_u64 s[14:15], 0, s[8:9]
	s_mov_b32 s19, 0
	v_dual_mov_b32 v3, 0 :: v_dual_mov_b32 v2, v0
	s_fmamk_f32 s0, s2, 0x4f800000, s0
	s_delay_alu instid0(SALU_CYCLE_3) | instskip(NEXT) | instid1(TRANS32_DEP_1)
	v_s_rcp_f32 s0, s0
	s_mul_f32 s0, s0, 0x5f7ffffc
	s_delay_alu instid0(SALU_CYCLE_3) | instskip(NEXT) | instid1(SALU_CYCLE_3)
	s_mul_f32 s2, s0, 0x2f800000
	s_trunc_f32 s2, s2
	s_delay_alu instid0(SALU_CYCLE_3) | instskip(SKIP_1) | instid1(SALU_CYCLE_2)
	s_fmamk_f32 s0, s2, 0xcf800000, s0
	s_cvt_u32_f32 s3, s2
	s_cvt_u32_f32 s2, s0
	s_delay_alu instid0(SALU_CYCLE_3) | instskip(NEXT) | instid1(SALU_CYCLE_1)
	s_mul_u64 s[16:17], s[14:15], s[2:3]
	s_mul_hi_u32 s21, s2, s17
	s_mul_i32 s20, s2, s17
	s_mul_hi_u32 s18, s2, s16
	s_mul_i32 s22, s3, s16
	s_add_nc_u64 s[20:21], s[18:19], s[20:21]
	s_mul_hi_u32 s0, s3, s16
	s_mul_hi_u32 s23, s3, s17
	s_mul_i32 s16, s3, s17
	s_add_co_u32 s17, s20, s22
	s_add_co_ci_u32 s18, s21, s0
	s_add_co_ci_u32 s17, s23, 0
	s_delay_alu instid0(SALU_CYCLE_1) | instskip(NEXT) | instid1(SALU_CYCLE_1)
	s_add_nc_u64 s[16:17], s[18:19], s[16:17]
	s_add_co_u32 s2, s2, s16
	s_cselect_b32 s0, -1, 0
	s_delay_alu instid0(SALU_CYCLE_1) | instskip(SKIP_1) | instid1(SALU_CYCLE_1)
	s_cmp_lg_u32 s0, 0
	s_add_co_ci_u32 s3, s3, s17
	s_mul_u64 s[14:15], s[14:15], s[2:3]
	s_delay_alu instid0(SALU_CYCLE_1)
	s_mul_hi_u32 s17, s2, s15
	s_mul_i32 s16, s2, s15
	s_mul_hi_u32 s18, s2, s14
	s_mul_i32 s20, s3, s14
	s_add_nc_u64 s[16:17], s[18:19], s[16:17]
	s_mul_hi_u32 s0, s3, s14
	s_mul_hi_u32 s21, s3, s15
	s_mul_i32 s14, s3, s15
	s_add_co_u32 s15, s16, s20
	s_add_co_ci_u32 s18, s17, s0
	s_add_co_ci_u32 s15, s21, 0
	s_delay_alu instid0(SALU_CYCLE_1) | instskip(NEXT) | instid1(SALU_CYCLE_1)
	s_add_nc_u64 s[14:15], s[18:19], s[14:15]
	s_add_co_u32 s0, s2, s14
	s_cselect_b32 s2, -1, 0
	s_delay_alu instid0(SALU_CYCLE_1)
	s_cmp_lg_u32 s2, 0
	s_add_co_ci_u32 s18, s3, s15
	s_mov_b64 s[2:3], 0xffffffff
	v_mul_u64_e32 v[4:5], s[18:19], v[2:3]
	v_mul_hi_u32 v2, v0, s0
	s_and_b64 s[2:3], s[0:1], s[2:3]
	s_delay_alu instid0(VALU_DEP_1) | instskip(SKIP_1) | instid1(VALU_DEP_1)
	v_add_nc_u64_e32 v[4:5], v[2:3], v[4:5]
	v_mov_b32_e32 v2, v1
	v_mul_u64_e32 v[6:7], s[2:3], v[2:3]
	v_mul_u64_e32 v[8:9], s[18:19], v[2:3]
	s_delay_alu instid0(VALU_DEP_2) | instskip(NEXT) | instid1(VALU_DEP_3)
	v_add_co_u32 v2, vcc_lo, v4, v6
	v_add_co_ci_u32_e32 v2, vcc_lo, v5, v7, vcc_lo
	s_delay_alu instid0(VALU_DEP_3) | instskip(NEXT) | instid1(VALU_DEP_1)
	v_add_co_ci_u32_e32 v9, vcc_lo, 0, v9, vcc_lo
	v_add_nc_u64_e32 v[2:3], v[2:3], v[8:9]
	s_delay_alu instid0(VALU_DEP_1) | instskip(NEXT) | instid1(VALU_DEP_1)
	v_mul_u64_e32 v[4:5], s[8:9], v[2:3]
	v_sub_nc_u32_e32 v6, v1, v5
	s_delay_alu instid0(VALU_DEP_2) | instskip(NEXT) | instid1(VALU_DEP_1)
	v_sub_co_u32 v4, vcc_lo, v0, v4
	v_sub_co_ci_u32_e64 v11, null, v1, v5, vcc_lo
	s_delay_alu instid0(VALU_DEP_3) | instskip(NEXT) | instid1(VALU_DEP_3)
	v_subrev_co_ci_u32_e64 v6, null, s9, v6, vcc_lo
	v_sub_co_u32 v8, s0, v4, s8
	v_cmp_le_u32_e32 vcc_lo, s8, v4
	s_delay_alu instid0(VALU_DEP_3) | instskip(NEXT) | instid1(VALU_DEP_3)
	v_subrev_co_ci_u32_e64 v9, null, 0, v6, s0
	v_cmp_le_u32_e64 s0, s8, v8
	v_add_nc_u64_e32 v[6:7], 2, v[2:3]
	v_cndmask_b32_e64 v12, 0, -1, vcc_lo
	s_delay_alu instid0(VALU_DEP_4) | instskip(SKIP_3) | instid1(VALU_DEP_1)
	v_cmp_eq_u32_e32 vcc_lo, s9, v9
	v_add_nc_u64_e32 v[4:5], 1, v[2:3]
	v_cndmask_b32_e64 v8, 0, -1, s0
	v_cmp_le_u32_e64 s0, s9, v9
	v_cndmask_b32_e64 v10, 0, -1, s0
	v_cmp_eq_u32_e64 s0, s9, v11
	s_delay_alu instid0(VALU_DEP_2) | instskip(SKIP_2) | instid1(VALU_DEP_3)
	v_cndmask_b32_e32 v8, v10, v8, vcc_lo
	v_cmp_le_u32_e32 vcc_lo, s9, v11
	v_cndmask_b32_e64 v9, 0, -1, vcc_lo
	v_cmp_ne_u32_e32 vcc_lo, 0, v8
	s_delay_alu instid0(VALU_DEP_2) | instskip(SKIP_1) | instid1(VALU_DEP_2)
	v_dual_cndmask_b32 v8, v9, v12, s0 :: v_dual_cndmask_b32 v4, v4, v6, vcc_lo
	v_cndmask_b32_e32 v5, v5, v7, vcc_lo
	v_cmp_ne_u32_e32 vcc_lo, 0, v8
	s_delay_alu instid0(VALU_DEP_2)
	v_dual_cndmask_b32 v3, v3, v5 :: v_dual_cndmask_b32 v2, v2, v4
.LBB48_3:
	s_and_not1_saveexec_b32 s0, s1
	s_cbranch_execz .LBB48_5
; %bb.4:
	v_cvt_f32_u32_e32 v2, s8
	s_sub_co_i32 s1, 0, s8
	s_delay_alu instid0(VALU_DEP_1) | instskip(SKIP_1) | instid1(TRANS32_DEP_1)
	v_rcp_iflag_f32_e32 v2, v2
	v_nop
	v_mul_f32_e32 v2, 0x4f7ffffe, v2
	s_delay_alu instid0(VALU_DEP_1) | instskip(NEXT) | instid1(VALU_DEP_1)
	v_cvt_u32_f32_e32 v2, v2
	v_mul_lo_u32 v3, s1, v2
	s_delay_alu instid0(VALU_DEP_1) | instskip(NEXT) | instid1(VALU_DEP_1)
	v_mul_hi_u32 v3, v2, v3
	v_add_nc_u32_e32 v2, v2, v3
	s_delay_alu instid0(VALU_DEP_1) | instskip(NEXT) | instid1(VALU_DEP_1)
	v_mul_hi_u32 v2, v0, v2
	v_mul_lo_u32 v3, v2, s8
	s_delay_alu instid0(VALU_DEP_1) | instskip(NEXT) | instid1(VALU_DEP_1)
	v_dual_add_nc_u32 v4, 1, v2 :: v_dual_sub_nc_u32 v3, v0, v3
	v_subrev_nc_u32_e32 v5, s8, v3
	v_cmp_le_u32_e32 vcc_lo, s8, v3
	s_delay_alu instid0(VALU_DEP_2) | instskip(NEXT) | instid1(VALU_DEP_1)
	v_dual_cndmask_b32 v3, v3, v5 :: v_dual_cndmask_b32 v2, v2, v4
	v_cmp_le_u32_e32 vcc_lo, s8, v3
	s_delay_alu instid0(VALU_DEP_2) | instskip(NEXT) | instid1(VALU_DEP_1)
	v_dual_mov_b32 v3, 0 :: v_dual_add_nc_u32 v4, 1, v2
	v_cndmask_b32_e32 v2, v2, v4, vcc_lo
.LBB48_5:
	s_or_b32 exec_lo, exec_lo, s0
	s_delay_alu instid0(VALU_DEP_1) | instskip(SKIP_2) | instid1(VALU_DEP_2)
	v_mul_u64_e32 v[4:5], s[8:9], v[2:3]
                                        ; implicit-def: $vgpr8_vgpr9
	s_mov_b32 s0, exec_lo
	v_mov_b32_e32 v6, 0
	v_sub_nc_u64_e32 v[4:5], v[0:1], v[4:5]
	s_delay_alu instid0(VALU_DEP_1) | instskip(NEXT) | instid1(VALU_DEP_1)
	v_or_b32_e32 v7, s11, v5
	v_cmpx_ne_u64_e32 0, v[6:7]
	s_xor_b32 s1, exec_lo, s0
	s_cbranch_execz .LBB48_7
; %bb.6:
	s_cvt_f32_u32 s0, s10
	s_cvt_f32_u32 s2, s11
	s_sub_nc_u64 s[8:9], 0, s[10:11]
	s_mov_b32 s17, 0
	v_dual_mov_b32 v8, v4 :: v_dual_mov_b32 v9, v6
	s_fmamk_f32 s0, s2, 0x4f800000, s0
	v_dual_mov_b32 v10, v5 :: v_dual_mov_b32 v11, v6
	v_dual_mov_b32 v15, v6 :: v_dual_mov_b32 v7, v6
	s_delay_alu instid0(SALU_CYCLE_1) | instskip(NEXT) | instid1(TRANS32_DEP_1)
	v_s_rcp_f32 s0, s0
	s_mul_f32 s0, s0, 0x5f7ffffc
	s_delay_alu instid0(SALU_CYCLE_3) | instskip(NEXT) | instid1(SALU_CYCLE_3)
	s_mul_f32 s2, s0, 0x2f800000
	s_trunc_f32 s2, s2
	s_delay_alu instid0(SALU_CYCLE_3) | instskip(SKIP_1) | instid1(SALU_CYCLE_2)
	s_fmamk_f32 s0, s2, 0xcf800000, s0
	s_cvt_u32_f32 s3, s2
	s_cvt_u32_f32 s2, s0
	s_delay_alu instid0(SALU_CYCLE_3) | instskip(NEXT) | instid1(SALU_CYCLE_1)
	s_mul_u64 s[14:15], s[8:9], s[2:3]
	s_mul_hi_u32 s19, s2, s15
	s_mul_i32 s18, s2, s15
	s_mul_hi_u32 s16, s2, s14
	s_mul_i32 s20, s3, s14
	s_add_nc_u64 s[18:19], s[16:17], s[18:19]
	s_mul_hi_u32 s0, s3, s14
	s_mul_hi_u32 s21, s3, s15
	s_mul_i32 s14, s3, s15
	s_add_co_u32 s15, s18, s20
	s_add_co_ci_u32 s16, s19, s0
	s_add_co_ci_u32 s15, s21, 0
	s_delay_alu instid0(SALU_CYCLE_1) | instskip(NEXT) | instid1(SALU_CYCLE_1)
	s_add_nc_u64 s[14:15], s[16:17], s[14:15]
	s_add_co_u32 s2, s2, s14
	s_cselect_b32 s0, -1, 0
	s_delay_alu instid0(SALU_CYCLE_1) | instskip(SKIP_1) | instid1(SALU_CYCLE_1)
	s_cmp_lg_u32 s0, 0
	s_add_co_ci_u32 s3, s3, s15
	s_mul_u64 s[8:9], s[8:9], s[2:3]
	s_delay_alu instid0(SALU_CYCLE_1)
	s_mul_hi_u32 s15, s2, s9
	s_mul_i32 s14, s2, s9
	s_mul_hi_u32 s16, s2, s8
	s_mul_i32 s18, s3, s8
	s_add_nc_u64 s[14:15], s[16:17], s[14:15]
	s_mul_hi_u32 s0, s3, s8
	s_mul_hi_u32 s19, s3, s9
	s_mul_i32 s8, s3, s9
	s_add_co_u32 s9, s14, s18
	s_add_co_ci_u32 s16, s15, s0
	s_add_co_ci_u32 s9, s19, 0
	s_delay_alu instid0(SALU_CYCLE_1) | instskip(NEXT) | instid1(SALU_CYCLE_1)
	s_add_nc_u64 s[8:9], s[16:17], s[8:9]
	s_add_co_u32 s0, s2, s8
	s_cselect_b32 s2, -1, 0
	v_nop
	v_mul_hi_u32 v14, v4, s0
	s_cmp_lg_u32 s2, 0
	s_add_co_ci_u32 s16, s3, s9
	s_mov_b64 s[2:3], 0xffffffff
	v_mul_u64_e32 v[8:9], s[16:17], v[8:9]
	s_and_b64 s[2:3], s[0:1], s[2:3]
	s_delay_alu instid0(SALU_CYCLE_1) | instskip(SKIP_1) | instid1(VALU_DEP_3)
	v_mul_u64_e32 v[12:13], s[2:3], v[10:11]
	v_mul_u64_e32 v[10:11], s[16:17], v[10:11]
	v_add_nc_u64_e32 v[8:9], v[14:15], v[8:9]
	s_delay_alu instid0(VALU_DEP_1) | instskip(NEXT) | instid1(VALU_DEP_2)
	v_add_co_u32 v6, vcc_lo, v8, v12
	v_add_co_ci_u32_e32 v6, vcc_lo, v9, v13, vcc_lo
	s_delay_alu instid0(VALU_DEP_4) | instskip(NEXT) | instid1(VALU_DEP_1)
	v_add_co_ci_u32_e32 v11, vcc_lo, 0, v11, vcc_lo
	v_add_nc_u64_e32 v[6:7], v[6:7], v[10:11]
	s_delay_alu instid0(VALU_DEP_1) | instskip(NEXT) | instid1(VALU_DEP_1)
	v_mul_u64_e32 v[8:9], s[10:11], v[6:7]
	v_sub_nc_u32_e32 v10, v5, v9
	s_delay_alu instid0(VALU_DEP_2) | instskip(NEXT) | instid1(VALU_DEP_1)
	v_sub_co_u32 v8, vcc_lo, v4, v8
	v_sub_co_ci_u32_e64 v15, null, v5, v9, vcc_lo
	s_delay_alu instid0(VALU_DEP_3) | instskip(NEXT) | instid1(VALU_DEP_3)
	v_subrev_co_ci_u32_e64 v10, null, s11, v10, vcc_lo
	v_sub_co_u32 v12, s0, v8, s10
	v_cmp_le_u32_e32 vcc_lo, s10, v8
	s_delay_alu instid0(VALU_DEP_3) | instskip(NEXT) | instid1(VALU_DEP_3)
	v_subrev_co_ci_u32_e64 v13, null, 0, v10, s0
	v_cmp_le_u32_e64 s0, s10, v12
	v_add_nc_u64_e32 v[10:11], 2, v[6:7]
	v_cndmask_b32_e64 v16, 0, -1, vcc_lo
	s_delay_alu instid0(VALU_DEP_4) | instskip(SKIP_3) | instid1(VALU_DEP_1)
	v_cmp_eq_u32_e32 vcc_lo, s11, v13
	v_add_nc_u64_e32 v[8:9], 1, v[6:7]
	v_cndmask_b32_e64 v12, 0, -1, s0
	v_cmp_le_u32_e64 s0, s11, v13
	v_cndmask_b32_e64 v14, 0, -1, s0
	v_cmp_eq_u32_e64 s0, s11, v15
	s_delay_alu instid0(VALU_DEP_2) | instskip(SKIP_2) | instid1(VALU_DEP_3)
	v_cndmask_b32_e32 v12, v14, v12, vcc_lo
	v_cmp_le_u32_e32 vcc_lo, s11, v15
	v_cndmask_b32_e64 v13, 0, -1, vcc_lo
	v_cmp_ne_u32_e32 vcc_lo, 0, v12
	s_delay_alu instid0(VALU_DEP_2) | instskip(SKIP_1) | instid1(VALU_DEP_2)
	v_dual_cndmask_b32 v12, v13, v16, s0 :: v_dual_cndmask_b32 v8, v8, v10, vcc_lo
	v_cndmask_b32_e32 v9, v9, v11, vcc_lo
	v_cmp_ne_u32_e32 vcc_lo, 0, v12
	s_delay_alu instid0(VALU_DEP_2)
	v_dual_cndmask_b32 v8, v6, v8 :: v_dual_cndmask_b32 v9, v7, v9
.LBB48_7:
	s_and_not1_saveexec_b32 s0, s1
	s_cbranch_execz .LBB48_9
; %bb.8:
	v_cvt_f32_u32_e32 v6, s10
	s_sub_co_i32 s1, 0, s10
	s_delay_alu instid0(VALU_DEP_1) | instskip(SKIP_1) | instid1(TRANS32_DEP_1)
	v_rcp_iflag_f32_e32 v6, v6
	v_nop
	v_mul_f32_e32 v6, 0x4f7ffffe, v6
	s_delay_alu instid0(VALU_DEP_1) | instskip(NEXT) | instid1(VALU_DEP_1)
	v_cvt_u32_f32_e32 v6, v6
	v_mul_lo_u32 v7, s1, v6
	s_delay_alu instid0(VALU_DEP_1) | instskip(NEXT) | instid1(VALU_DEP_1)
	v_mul_hi_u32 v7, v6, v7
	v_add_nc_u32_e32 v6, v6, v7
	s_delay_alu instid0(VALU_DEP_1) | instskip(NEXT) | instid1(VALU_DEP_1)
	v_mul_hi_u32 v6, v4, v6
	v_mul_lo_u32 v7, v6, s10
	s_delay_alu instid0(VALU_DEP_1) | instskip(NEXT) | instid1(VALU_DEP_1)
	v_dual_add_nc_u32 v8, 1, v6 :: v_dual_sub_nc_u32 v7, v4, v7
	v_subrev_nc_u32_e32 v9, s10, v7
	v_cmp_le_u32_e32 vcc_lo, s10, v7
	s_delay_alu instid0(VALU_DEP_2) | instskip(NEXT) | instid1(VALU_DEP_4)
	v_dual_cndmask_b32 v7, v7, v9, vcc_lo :: v_dual_mov_b32 v9, 0
	v_cndmask_b32_e32 v6, v6, v8, vcc_lo
	s_delay_alu instid0(VALU_DEP_2) | instskip(NEXT) | instid1(VALU_DEP_2)
	v_cmp_le_u32_e32 vcc_lo, s10, v7
	v_add_nc_u32_e32 v8, 1, v6
	s_delay_alu instid0(VALU_DEP_1)
	v_cndmask_b32_e32 v8, v6, v8, vcc_lo
.LBB48_9:
	s_or_b32 exec_lo, exec_lo, s0
	s_delay_alu instid0(VALU_DEP_1) | instskip(SKIP_1) | instid1(VALU_DEP_1)
	v_mul_u64_e32 v[6:7], s[10:11], v[8:9]
	v_mad_nc_u64_u32 v[8:9], v2, s6, v[8:9]
	v_mad_u32 v3, v3, s6, v9
	s_delay_alu instid0(VALU_DEP_1) | instskip(NEXT) | instid1(VALU_DEP_4)
	v_mad_u32 v2, v2, s7, v3
	v_sub_nc_u64_e32 v[4:5], v[4:5], v[6:7]
	s_delay_alu instid0(VALU_DEP_1) | instskip(NEXT) | instid1(VALU_DEP_1)
	v_mad_nc_u64_u32 v[4:5], v8, s4, v[4:5]
	v_mad_u32 v2, v2, s4, v5
	s_delay_alu instid0(VALU_DEP_2) | instskip(NEXT) | instid1(VALU_DEP_2)
	v_cvt_f64_u32_e32 v[6:7], v4
	v_mad_u32 v5, v8, s5, v2
                                        ; implicit-def: $vgpr8
	s_delay_alu instid0(VALU_DEP_1) | instskip(SKIP_1) | instid1(VALU_DEP_2)
	v_cvt_f64_u32_e32 v[2:3], v5
	v_cmp_lt_u64_e32 vcc_lo, 0x3fffffff, v[4:5]
                                        ; implicit-def: $vgpr4_vgpr5
	v_ldexp_f64 v[2:3], v[2:3], 32
	s_delay_alu instid0(VALU_DEP_1) | instskip(SKIP_1) | instid1(SALU_CYCLE_1)
	v_add_f64_e32 v[2:3], v[2:3], v[6:7]
                                        ; implicit-def: $vgpr6_vgpr7
	s_and_saveexec_b32 s0, vcc_lo
	s_xor_b32 s0, exec_lo, s0
	s_cbranch_execz .LBB48_11
; %bb.10:
	s_delay_alu instid0(VALU_DEP_1) | instskip(SKIP_3) | instid1(VALU_DEP_3)
	v_trig_preop_f64 v[4:5], v[2:3], 0
	v_trig_preop_f64 v[6:7], v[2:3], 1
	;; [unrolled: 1-line block ×3, first 2 shown]
	s_mov_b64 s[2:3], 0x3ff921fb54442d18
	v_dual_mul_f64 v[8:9], v[4:5], v[2:3] :: v_dual_mov_b32 v24, 0
	s_delay_alu instid0(VALU_DEP_3) | instskip(NEXT) | instid1(VALU_DEP_3)
	v_mul_f64_e32 v[10:11], v[6:7], v[2:3]
	v_mul_f64_e32 v[22:23], v[16:17], v[2:3]
	s_delay_alu instid0(VALU_DEP_3) | instskip(NEXT) | instid1(VALU_DEP_3)
	v_fma_f64 v[4:5], v[4:5], v[2:3], -v[8:9]
	v_fma_f64 v[6:7], v[6:7], v[2:3], -v[10:11]
	s_delay_alu instid0(VALU_DEP_3) | instskip(NEXT) | instid1(VALU_DEP_3)
	v_fma_f64 v[2:3], v[16:17], v[2:3], -v[22:23]
	v_add_f64_e32 v[12:13], v[10:11], v[4:5]
	s_delay_alu instid0(VALU_DEP_1) | instskip(SKIP_1) | instid1(VALU_DEP_2)
	v_add_f64_e64 v[14:15], v[12:13], -v[10:11]
	v_add_f64_e32 v[20:21], v[8:9], v[12:13]
	v_add_f64_e64 v[18:19], v[12:13], -v[14:15]
	v_add_f64_e64 v[4:5], v[4:5], -v[14:15]
	s_delay_alu instid0(VALU_DEP_3) | instskip(NEXT) | instid1(VALU_DEP_3)
	v_ldexp_f64 v[14:15], v[20:21], -2
	v_add_f64_e64 v[10:11], v[10:11], -v[18:19]
	v_add_f64_e32 v[18:19], v[22:23], v[6:7]
	s_delay_alu instid0(VALU_DEP_3) | instskip(NEXT) | instid1(VALU_DEP_3)
	v_cmp_neq_f64_e64 vcc_lo, 0x7ff00000, |v[14:15]|
	v_add_f64_e32 v[4:5], v[4:5], v[10:11]
	v_fract_f64_e32 v[10:11], v[14:15]
	s_delay_alu instid0(VALU_DEP_1) | instskip(NEXT) | instid1(VALU_DEP_1)
	v_ldexp_f64 v[10:11], v[10:11], 2
	v_dual_add_f64 v[8:9], v[20:21], -v[8:9] :: v_dual_cndmask_b32 v10, 0, v10, vcc_lo
	s_delay_alu instid0(VALU_DEP_1) | instskip(SKIP_1) | instid1(VALU_DEP_1)
	v_dual_add_f64 v[8:9], v[12:13], -v[8:9] :: v_dual_cndmask_b32 v11, 0, v11, vcc_lo
	v_add_f64_e32 v[12:13], v[18:19], v[4:5]
	v_add_f64_e32 v[14:15], v[8:9], v[12:13]
	v_add_f64_e64 v[26:27], v[12:13], -v[18:19]
	s_delay_alu instid0(VALU_DEP_2) | instskip(NEXT) | instid1(VALU_DEP_2)
	v_add_f64_e32 v[20:21], v[14:15], v[10:11]
	v_add_f64_e64 v[32:33], v[12:13], -v[26:27]
	v_add_f64_e64 v[4:5], v[4:5], -v[26:27]
	;; [unrolled: 1-line block ×3, first 2 shown]
	s_delay_alu instid0(VALU_DEP_4) | instskip(SKIP_1) | instid1(VALU_DEP_3)
	v_cmp_gt_f64_e32 vcc_lo, 0, v[20:21]
	v_add_f64_e64 v[20:21], v[18:19], -v[22:23]
	v_add_f64_e64 v[8:9], v[12:13], -v[8:9]
	v_cndmask_b32_e64 v25, 0, 0x40100000, vcc_lo
	s_delay_alu instid0(VALU_DEP_3) | instskip(SKIP_2) | instid1(VALU_DEP_4)
	v_add_f64_e64 v[30:31], v[18:19], -v[20:21]
	v_add_f64_e64 v[6:7], v[6:7], -v[20:21]
	;; [unrolled: 1-line block ×3, first 2 shown]
	v_add_f64_e32 v[10:11], v[10:11], v[24:25]
	s_delay_alu instid0(VALU_DEP_4) | instskip(NEXT) | instid1(VALU_DEP_3)
	v_add_f64_e64 v[20:21], v[22:23], -v[30:31]
	v_add_f64_e32 v[4:5], v[4:5], v[18:19]
	s_delay_alu instid0(VALU_DEP_3) | instskip(NEXT) | instid1(VALU_DEP_3)
	v_add_f64_e32 v[28:29], v[14:15], v[10:11]
	v_add_f64_e32 v[6:7], v[6:7], v[20:21]
	s_delay_alu instid0(VALU_DEP_2) | instskip(NEXT) | instid1(VALU_DEP_2)
	v_cvt_i32_f64_e32 v25, v[28:29]
	v_add_f64_e32 v[4:5], v[6:7], v[4:5]
	s_delay_alu instid0(VALU_DEP_2) | instskip(NEXT) | instid1(VALU_DEP_2)
	v_cvt_f64_i32_e32 v[26:27], v25
	v_add_f64_e32 v[2:3], v[2:3], v[4:5]
	s_delay_alu instid0(VALU_DEP_2) | instskip(NEXT) | instid1(VALU_DEP_2)
	v_add_f64_e64 v[10:11], v[10:11], -v[26:27]
	v_add_f64_e32 v[2:3], v[8:9], v[2:3]
	s_delay_alu instid0(VALU_DEP_2) | instskip(NEXT) | instid1(VALU_DEP_1)
	v_add_f64_e32 v[6:7], v[14:15], v[10:11]
	v_add_f64_e64 v[4:5], v[6:7], -v[10:11]
	v_cmp_le_f64_e32 vcc_lo, 0.5, v[6:7]
	s_delay_alu instid0(VALU_DEP_2) | instskip(SKIP_2) | instid1(VALU_DEP_3)
	v_add_f64_e64 v[4:5], v[14:15], -v[4:5]
	v_add_co_ci_u32_e64 v8, null, 0, v25, vcc_lo
	v_cndmask_b32_e64 v25, 0, 0x3ff00000, vcc_lo
	v_add_f64_e32 v[2:3], v[2:3], v[4:5]
	s_delay_alu instid0(VALU_DEP_2) | instskip(NEXT) | instid1(VALU_DEP_1)
	v_add_f64_e64 v[4:5], v[6:7], -v[24:25]
	v_add_f64_e32 v[6:7], v[4:5], v[2:3]
	s_delay_alu instid0(VALU_DEP_1) | instskip(SKIP_1) | instid1(VALU_DEP_2)
	v_mul_f64_e32 v[10:11], 0x3ff921fb54442d18, v[6:7]
	v_add_f64_e64 v[4:5], v[6:7], -v[4:5]
	v_fma_f64 v[12:13], v[6:7], s[2:3], -v[10:11]
	s_delay_alu instid0(VALU_DEP_2) | instskip(NEXT) | instid1(VALU_DEP_2)
	v_add_f64_e64 v[2:3], v[2:3], -v[4:5]
	v_fmamk_f64 v[6:7], v[6:7], 0x3c91a62633145c07, v[12:13]
	s_delay_alu instid0(VALU_DEP_1) | instskip(NEXT) | instid1(VALU_DEP_1)
	v_fmac_f64_e32 v[6:7], 0x3ff921fb54442d18, v[2:3]
	v_add_f64_e32 v[4:5], v[10:11], v[6:7]
	s_delay_alu instid0(VALU_DEP_1) | instskip(NEXT) | instid1(VALU_DEP_1)
	v_add_f64_e64 v[2:3], v[4:5], -v[10:11]
	v_add_f64_e64 v[6:7], v[6:7], -v[2:3]
                                        ; implicit-def: $vgpr2_vgpr3
.LBB48_11:
	s_and_not1_saveexec_b32 s0, s0
	s_cbranch_execz .LBB48_13
; %bb.12:
	s_delay_alu instid0(VALU_DEP_1) | instskip(NEXT) | instid1(VALU_DEP_1)
	v_mul_f64_e32 v[4:5], 0x3fe45f306dc9c883, v[2:3]
	v_rndne_f64_e32 v[8:9], v[4:5]
	s_delay_alu instid0(VALU_DEP_1) | instskip(SKIP_1) | instid1(VALU_DEP_1)
	v_mul_f64_e32 v[4:5], 0xbc91a62633145c00, v[8:9]
	v_fmamk_f64 v[2:3], v[8:9], 0xbff921fb54442d18, v[2:3]
	v_add_f64_e32 v[6:7], v[2:3], v[4:5]
	s_delay_alu instid0(VALU_DEP_1) | instskip(SKIP_1) | instid1(VALU_DEP_1)
	v_add_f64_e64 v[10:11], v[2:3], -v[6:7]
	v_fmamk_f64 v[2:3], v[8:9], 0xbc91a62633145c00, v[2:3]
	v_add_f64_e64 v[6:7], v[6:7], -v[2:3]
	s_delay_alu instid0(VALU_DEP_3) | instskip(SKIP_1) | instid1(VALU_DEP_2)
	v_add_f64_e32 v[10:11], v[10:11], v[4:5]
	v_fmamk_f64 v[4:5], v[8:9], 0x3c91a62633145c00, v[4:5]
	v_add_f64_e32 v[6:7], v[6:7], v[10:11]
	s_delay_alu instid0(VALU_DEP_1) | instskip(NEXT) | instid1(VALU_DEP_1)
	v_add_f64_e64 v[4:5], v[6:7], -v[4:5]
	v_fmamk_f64 v[6:7], v[8:9], 0xb97b839a252049c0, v[4:5]
	v_cvt_i32_f64_e32 v8, v[8:9]
	s_delay_alu instid0(VALU_DEP_2) | instskip(NEXT) | instid1(VALU_DEP_1)
	v_add_f64_e32 v[4:5], v[2:3], v[6:7]
	v_add_f64_e64 v[2:3], v[4:5], -v[2:3]
	s_delay_alu instid0(VALU_DEP_1)
	v_add_f64_e64 v[6:7], v[6:7], -v[2:3]
.LBB48_13:
	s_or_b32 exec_lo, exec_lo, s0
	v_mul_f64_e32 v[2:3], v[4:5], v[4:5]
	s_delay_alu instid0(VALU_DEP_2) | instskip(SKIP_2) | instid1(VALU_DEP_2)
	v_mul_f64_e32 v[16:17], 0.5, v[6:7]
	s_mov_b64 s[0:1], 0x3de5e0b2f9a43bb8
	s_mov_b32 s2, exec_lo
	v_mul_f64_e32 v[10:11], 0.5, v[2:3]
	v_mul_f64_e64 v[18:19], v[4:5], -v[2:3]
	v_fmaak_f64 v[20:21], s[0:1], v[2:3], 0xbe5ae600b42fdfa7
	s_mov_b64 s[0:1], 0xbda907db46cc5e42
	s_delay_alu instid0(VALU_DEP_1) | instskip(NEXT) | instid1(VALU_DEP_4)
	v_fmaak_f64 v[20:21], v[2:3], v[20:21], 0x3ec71de3796cde01
	v_add_f64_e64 v[12:13], -v[10:11], 1.0
	s_delay_alu instid0(VALU_DEP_1) | instskip(NEXT) | instid1(VALU_DEP_1)
	v_add_f64_e64 v[14:15], -v[12:13], 1.0
	v_add_f64_e64 v[10:11], v[14:15], -v[10:11]
	s_delay_alu instid0(VALU_DEP_4) | instskip(SKIP_1) | instid1(VALU_DEP_2)
	v_fmaak_f64 v[14:15], v[2:3], v[20:21], 0xbf2a01a019e83e5c
	v_mul_f64_e32 v[20:21], v[2:3], v[2:3]
	v_fmaak_f64 v[14:15], v[2:3], v[14:15], 0x3f81111111110bb3
	s_delay_alu instid0(VALU_DEP_1) | instskip(SKIP_2) | instid1(VALU_DEP_1)
	v_fmac_f64_e32 v[16:17], v[18:19], v[14:15]
	v_fmaak_f64 v[14:15], s[0:1], v[2:3], 0x3e21eeb69037ab78
	s_mov_b64 s[0:1], 0x7ff0000000000000
	v_fmaak_f64 v[14:15], v[2:3], v[14:15], 0xbe927e4fa17f65f6
	s_delay_alu instid0(VALU_DEP_1) | instskip(SKIP_1) | instid1(VALU_DEP_2)
	v_fmaak_f64 v[14:15], v[2:3], v[14:15], 0x3efa01a019f4ec90
	v_fma_f64 v[10:11], v[4:5], -v[6:7], v[10:11]
	v_fmaak_f64 v[14:15], v[2:3], v[14:15], 0xbf56c16c16c16967
	v_fma_f64 v[6:7], v[2:3], v[16:17], -v[6:7]
	s_delay_alu instid0(VALU_DEP_2) | instskip(NEXT) | instid1(VALU_DEP_1)
	v_fmaak_f64 v[2:3], v[2:3], v[14:15], 0x3fa5555555555555
	v_fmac_f64_e32 v[10:11], v[20:21], v[2:3]
	s_delay_alu instid0(VALU_DEP_3) | instskip(SKIP_1) | instid1(VALU_DEP_1)
	v_fmamk_f64 v[2:3], v[18:19], 0xbfc5555555555555, v[6:7]
	v_dual_lshlrev_b32 v6, 30, v8 :: v_dual_bitop2_b32 v7, 1, v8 bitop3:0x40
	v_cmp_eq_u32_e32 vcc_lo, 0, v7
	s_delay_alu instid0(VALU_DEP_3) | instskip(NEXT) | instid1(VALU_DEP_3)
	v_add_f64_e64 v[2:3], v[4:5], -v[2:3]
	v_and_b32_e32 v8, 0x80000000, v6
	v_add_f64_e32 v[4:5], v[12:13], v[10:11]
	s_delay_alu instid0(VALU_DEP_3) | instskip(NEXT) | instid1(VALU_DEP_1)
	v_xor_b32_e32 v3, 0x80000000, v3
	v_cndmask_b32_e32 v3, v3, v5, vcc_lo
	v_mov_b32_e32 v5, 0x80
	s_delay_alu instid0(VALU_DEP_2) | instskip(SKIP_1) | instid1(VALU_DEP_1)
	v_bitop3_b32 v9, v3, 0x7ff00000, v8 bitop3:0x48
	v_mov_b32_e32 v8, 0
	v_cmpx_ne_u64_e64 s[0:1], v[8:9]
	s_cbranch_execz .LBB48_25
; %bb.14:
	v_bitop3_b32 v3, v3, v6, 0x80000000 bitop3:0x78
	v_cndmask_b32_e32 v2, v2, v4, vcc_lo
	s_mov_b64 s[0:1], 0x406e000000000001
	s_delay_alu instid0(VALU_DEP_2) | instskip(NEXT) | instid1(VALU_DEP_2)
	v_and_b32_e32 v5, 0x7fffffff, v3
	v_mov_b32_e32 v4, v2
	s_delay_alu instid0(VALU_DEP_1) | instskip(SKIP_1) | instid1(SALU_CYCLE_1)
	v_cmp_gt_u64_e32 vcc_lo, s[0:1], v[4:5]
                                        ; implicit-def: $vgpr5
	s_and_saveexec_b32 s0, vcc_lo
	s_xor_b32 s3, exec_lo, s0
	s_cbranch_execz .LBB48_22
; %bb.15:
	v_mov_b32_e32 v5, 0
	s_mov_b32 s4, exec_lo
	v_cmpx_ne_u64_e32 0, v[2:3]
	s_cbranch_execz .LBB48_21
; %bb.16:
	v_bfe_u32 v14, v3, 20, 11
	v_and_b32_e32 v5, 0xfffff, v3
	s_mov_b32 s5, 0
	s_delay_alu instid0(VALU_DEP_2) | instskip(SKIP_1) | instid1(VALU_DEP_3)
	v_sub_nc_u32_e64 v4, 0x3f8, v14 clamp
	v_cmp_eq_u32_e32 vcc_lo, 0, v14
	v_or_b32_e32 v6, 0x100000, v5
	s_delay_alu instid0(VALU_DEP_3) | instskip(SKIP_1) | instid1(VALU_DEP_2)
	v_cndmask_b32_e64 v15, v4, 0x3f7, vcc_lo
	v_mov_b32_e32 v4, v2
	v_dual_cndmask_b32 v5, v6, v5, vcc_lo :: v_dual_add_nc_u32 v7, 48, v15
	v_add_nc_u32_e32 v6, 49, v15
	s_delay_alu instid0(VALU_DEP_2) | instskip(NEXT) | instid1(VALU_DEP_3)
	v_lshrrev_b64 v[10:11], v15, v[4:5]
	v_lshlrev_b64_e64 v[12:13], v7, 1
	s_delay_alu instid0(VALU_DEP_3) | instskip(SKIP_1) | instid1(VALU_DEP_4)
	v_lshlrev_b64_e64 v[8:9], v6, -1
	v_mov_b32_e32 v6, 0
	v_and_b32_e32 v7, 0x20000, v11
	s_delay_alu instid0(VALU_DEP_3) | instskip(NEXT) | instid1(VALU_DEP_4)
	v_bfi_b32 v5, v9, 0, v5
	v_bfi_b32 v4, v8, 0, v2
	v_add_nc_u32_e32 v2, 0xfffffc09, v14
	s_delay_alu instid0(VALU_DEP_2) | instskip(SKIP_2) | instid1(VALU_DEP_4)
	v_cmp_eq_u64_e64 s1, v[4:5], v[12:13]
	v_mov_b32_e32 v5, s5
	v_cmp_eq_u64_e64 s0, 0, v[6:7]
	v_cndmask_b32_e64 v2, v2, 0xfffffc0a, vcc_lo
	v_lshrrev_b32_e32 v7, 20, v11
	s_and_b32 s0, s0, s1
	s_delay_alu instid0(VALU_DEP_1) | instskip(SKIP_2) | instid1(VALU_DEP_2)
	v_add3_u32 v8, v2, v15, v7
	v_cndmask_b32_e64 v4, 0, 1, s0
	s_mov_b32 s0, exec_lo
                                        ; implicit-def: $vgpr2
	v_add_nc_u32_e32 v9, -1, v8
	s_delay_alu instid0(VALU_DEP_2) | instskip(NEXT) | instid1(VALU_DEP_1)
	v_sub_nc_u64_e32 v[4:5], v[10:11], v[4:5]
	v_and_b32_e32 v5, 0x1ffff, v5
	s_delay_alu instid0(VALU_DEP_1) | instskip(NEXT) | instid1(VALU_DEP_4)
	v_add_nc_u64_e32 v[4:5], v[4:5], v[10:11]
	v_cmpx_ne_u32_e32 0, v9
	s_xor_b32 s0, exec_lo, s0
; %bb.17:
	s_delay_alu instid0(VALU_DEP_2) | instskip(SKIP_1) | instid1(VALU_DEP_2)
	v_and_b32_e32 v7, 0x200000, v5
	v_bfe_u32 v2, v5, 21, 1
	v_cmp_eq_u64_e32 vcc_lo, 0, v[6:7]
	s_delay_alu instid0(VALU_DEP_2)
	v_lshrrev_b64 v[4:5], v2, v[4:5]
	v_cndmask_b32_e32 v2, v8, v9, vcc_lo
; %bb.18:
	s_and_not1_saveexec_b32 s0, s0
; %bb.19:
	s_delay_alu instid0(VALU_DEP_2)
	v_bfe_u32 v2, v5, 20, 1
; %bb.20:
	s_or_b32 exec_lo, exec_lo, s0
	v_dual_lshrrev_b32 v3, 24, v3 :: v_dual_lshrrev_b32 v4, 17, v5
	s_delay_alu instid0(VALU_DEP_2) | instskip(SKIP_1) | instid1(VALU_DEP_3)
	v_cmp_gt_i32_e32 vcc_lo, 16, v2
	v_dual_mov_b32 v5, 0 :: v_dual_min_i32 v6, 15, v2
	v_and_b32_e32 v3, 0x80, v3
	v_cmp_eq_u32_e64 s0, 0, v2
	v_cndmask_b32_e32 v4, 7, v4, vcc_lo
	s_delay_alu instid0(VALU_DEP_3) | instskip(NEXT) | instid1(VALU_DEP_2)
	v_lshl_or_b32 v3, v6, 3, v3
	v_cmp_eq_u64_e32 vcc_lo, 0, v[4:5]
	s_delay_alu instid0(VALU_DEP_2)
	v_and_or_b32 v2, v4, 7, v3
	s_and_b32 s0, s0, vcc_lo
	s_delay_alu instid0(VALU_DEP_1) | instid1(SALU_CYCLE_1)
	v_cndmask_b32_e64 v5, v2, 0, s0
.LBB48_21:
	s_or_b32 exec_lo, exec_lo, s4
                                        ; implicit-def: $vgpr2_vgpr3
.LBB48_22:
	s_and_not1_saveexec_b32 s0, s3
; %bb.23:
	v_lshrrev_b32_e32 v2, 24, v3
	s_delay_alu instid0(VALU_DEP_1)
	v_or_b32_e32 v5, 0x7f, v2
; %bb.24:
	s_or_b32 exec_lo, exec_lo, s0
.LBB48_25:
	s_delay_alu instid0(SALU_CYCLE_1)
	s_or_b32 exec_lo, exec_lo, s2
	v_add_nc_u64_e32 v[0:1], s[12:13], v[0:1]
	global_store_b8 v[0:1], v5, off
.LBB48_26:
	s_endpgm
	.section	.rodata,"a",@progbits
	.p2align	6, 0x0
	.amdhsa_kernel _Z11fill_kernelI17hipblaslt_f8_fnuzZ21hipblaslt_init_deviceIS0_Ev8ABC_dims24hipblaslt_initializationbPT_mmmmmEUlmE3_EvS5_mmT0_
		.amdhsa_group_segment_fixed_size 0
		.amdhsa_private_segment_fixed_size 0
		.amdhsa_kernarg_size 312
		.amdhsa_user_sgpr_count 2
		.amdhsa_user_sgpr_dispatch_ptr 0
		.amdhsa_user_sgpr_queue_ptr 0
		.amdhsa_user_sgpr_kernarg_segment_ptr 1
		.amdhsa_user_sgpr_dispatch_id 0
		.amdhsa_user_sgpr_kernarg_preload_length 0
		.amdhsa_user_sgpr_kernarg_preload_offset 0
		.amdhsa_user_sgpr_private_segment_size 0
		.amdhsa_wavefront_size32 1
		.amdhsa_uses_dynamic_stack 0
		.amdhsa_enable_private_segment 0
		.amdhsa_system_sgpr_workgroup_id_x 1
		.amdhsa_system_sgpr_workgroup_id_y 0
		.amdhsa_system_sgpr_workgroup_id_z 0
		.amdhsa_system_sgpr_workgroup_info 0
		.amdhsa_system_vgpr_workitem_id 0
		.amdhsa_next_free_vgpr 34
		.amdhsa_next_free_sgpr 24
		.amdhsa_named_barrier_count 0
		.amdhsa_reserve_vcc 1
		.amdhsa_float_round_mode_32 0
		.amdhsa_float_round_mode_16_64 0
		.amdhsa_float_denorm_mode_32 3
		.amdhsa_float_denorm_mode_16_64 3
		.amdhsa_fp16_overflow 0
		.amdhsa_memory_ordered 1
		.amdhsa_forward_progress 1
		.amdhsa_inst_pref_size 26
		.amdhsa_round_robin_scheduling 0
		.amdhsa_exception_fp_ieee_invalid_op 0
		.amdhsa_exception_fp_denorm_src 0
		.amdhsa_exception_fp_ieee_div_zero 0
		.amdhsa_exception_fp_ieee_overflow 0
		.amdhsa_exception_fp_ieee_underflow 0
		.amdhsa_exception_fp_ieee_inexact 0
		.amdhsa_exception_int_div_zero 0
	.end_amdhsa_kernel
	.section	.text._Z11fill_kernelI17hipblaslt_f8_fnuzZ21hipblaslt_init_deviceIS0_Ev8ABC_dims24hipblaslt_initializationbPT_mmmmmEUlmE3_EvS5_mmT0_,"axG",@progbits,_Z11fill_kernelI17hipblaslt_f8_fnuzZ21hipblaslt_init_deviceIS0_Ev8ABC_dims24hipblaslt_initializationbPT_mmmmmEUlmE3_EvS5_mmT0_,comdat
.Lfunc_end48:
	.size	_Z11fill_kernelI17hipblaslt_f8_fnuzZ21hipblaslt_init_deviceIS0_Ev8ABC_dims24hipblaslt_initializationbPT_mmmmmEUlmE3_EvS5_mmT0_, .Lfunc_end48-_Z11fill_kernelI17hipblaslt_f8_fnuzZ21hipblaslt_init_deviceIS0_Ev8ABC_dims24hipblaslt_initializationbPT_mmmmmEUlmE3_EvS5_mmT0_
                                        ; -- End function
	.set _Z11fill_kernelI17hipblaslt_f8_fnuzZ21hipblaslt_init_deviceIS0_Ev8ABC_dims24hipblaslt_initializationbPT_mmmmmEUlmE3_EvS5_mmT0_.num_vgpr, 34
	.set _Z11fill_kernelI17hipblaslt_f8_fnuzZ21hipblaslt_init_deviceIS0_Ev8ABC_dims24hipblaslt_initializationbPT_mmmmmEUlmE3_EvS5_mmT0_.num_agpr, 0
	.set _Z11fill_kernelI17hipblaslt_f8_fnuzZ21hipblaslt_init_deviceIS0_Ev8ABC_dims24hipblaslt_initializationbPT_mmmmmEUlmE3_EvS5_mmT0_.numbered_sgpr, 24
	.set _Z11fill_kernelI17hipblaslt_f8_fnuzZ21hipblaslt_init_deviceIS0_Ev8ABC_dims24hipblaslt_initializationbPT_mmmmmEUlmE3_EvS5_mmT0_.num_named_barrier, 0
	.set _Z11fill_kernelI17hipblaslt_f8_fnuzZ21hipblaslt_init_deviceIS0_Ev8ABC_dims24hipblaslt_initializationbPT_mmmmmEUlmE3_EvS5_mmT0_.private_seg_size, 0
	.set _Z11fill_kernelI17hipblaslt_f8_fnuzZ21hipblaslt_init_deviceIS0_Ev8ABC_dims24hipblaslt_initializationbPT_mmmmmEUlmE3_EvS5_mmT0_.uses_vcc, 1
	.set _Z11fill_kernelI17hipblaslt_f8_fnuzZ21hipblaslt_init_deviceIS0_Ev8ABC_dims24hipblaslt_initializationbPT_mmmmmEUlmE3_EvS5_mmT0_.uses_flat_scratch, 0
	.set _Z11fill_kernelI17hipblaslt_f8_fnuzZ21hipblaslt_init_deviceIS0_Ev8ABC_dims24hipblaslt_initializationbPT_mmmmmEUlmE3_EvS5_mmT0_.has_dyn_sized_stack, 0
	.set _Z11fill_kernelI17hipblaslt_f8_fnuzZ21hipblaslt_init_deviceIS0_Ev8ABC_dims24hipblaslt_initializationbPT_mmmmmEUlmE3_EvS5_mmT0_.has_recursion, 0
	.set _Z11fill_kernelI17hipblaslt_f8_fnuzZ21hipblaslt_init_deviceIS0_Ev8ABC_dims24hipblaslt_initializationbPT_mmmmmEUlmE3_EvS5_mmT0_.has_indirect_call, 0
	.section	.AMDGPU.csdata,"",@progbits
; Kernel info:
; codeLenInByte = 3320
; TotalNumSgprs: 26
; NumVgprs: 34
; ScratchSize: 0
; MemoryBound: 0
; FloatMode: 240
; IeeeMode: 1
; LDSByteSize: 0 bytes/workgroup (compile time only)
; SGPRBlocks: 0
; VGPRBlocks: 2
; NumSGPRsForWavesPerEU: 26
; NumVGPRsForWavesPerEU: 34
; NamedBarCnt: 0
; Occupancy: 16
; WaveLimiterHint : 0
; COMPUTE_PGM_RSRC2:SCRATCH_EN: 0
; COMPUTE_PGM_RSRC2:USER_SGPR: 2
; COMPUTE_PGM_RSRC2:TRAP_HANDLER: 0
; COMPUTE_PGM_RSRC2:TGID_X_EN: 1
; COMPUTE_PGM_RSRC2:TGID_Y_EN: 0
; COMPUTE_PGM_RSRC2:TGID_Z_EN: 0
; COMPUTE_PGM_RSRC2:TIDIG_COMP_CNT: 0
	.section	.text._Z11fill_kernelI17hipblaslt_f8_fnuzZ21hipblaslt_init_deviceIS0_Ev8ABC_dims24hipblaslt_initializationbPT_mmmmmEUlmE4_EvS5_mmT0_,"axG",@progbits,_Z11fill_kernelI17hipblaslt_f8_fnuzZ21hipblaslt_init_deviceIS0_Ev8ABC_dims24hipblaslt_initializationbPT_mmmmmEUlmE4_EvS5_mmT0_,comdat
	.protected	_Z11fill_kernelI17hipblaslt_f8_fnuzZ21hipblaslt_init_deviceIS0_Ev8ABC_dims24hipblaslt_initializationbPT_mmmmmEUlmE4_EvS5_mmT0_ ; -- Begin function _Z11fill_kernelI17hipblaslt_f8_fnuzZ21hipblaslt_init_deviceIS0_Ev8ABC_dims24hipblaslt_initializationbPT_mmmmmEUlmE4_EvS5_mmT0_
	.globl	_Z11fill_kernelI17hipblaslt_f8_fnuzZ21hipblaslt_init_deviceIS0_Ev8ABC_dims24hipblaslt_initializationbPT_mmmmmEUlmE4_EvS5_mmT0_
	.p2align	8
	.type	_Z11fill_kernelI17hipblaslt_f8_fnuzZ21hipblaslt_init_deviceIS0_Ev8ABC_dims24hipblaslt_initializationbPT_mmmmmEUlmE4_EvS5_mmT0_,@function
_Z11fill_kernelI17hipblaslt_f8_fnuzZ21hipblaslt_init_deviceIS0_Ev8ABC_dims24hipblaslt_initializationbPT_mmmmmEUlmE4_EvS5_mmT0_: ; @_Z11fill_kernelI17hipblaslt_f8_fnuzZ21hipblaslt_init_deviceIS0_Ev8ABC_dims24hipblaslt_initializationbPT_mmmmmEUlmE4_EvS5_mmT0_
; %bb.0:
	s_clause 0x1
	s_load_b32 s2, s[0:1], 0x2c
	s_load_b128 s[4:7], s[0:1], 0x0
	s_bfe_u32 s3, ttmp6, 0x4000c
	s_and_b32 s8, ttmp6, 15
	s_add_co_i32 s3, s3, 1
	s_getreg_b32 s9, hwreg(HW_REG_IB_STS2, 6, 4)
	s_mul_i32 s3, ttmp9, s3
	v_mov_b32_e32 v5, 0
	s_add_co_i32 s8, s8, s3
	s_wait_kmcnt 0x0
	s_and_b32 s2, s2, 0xffff
	s_cmp_eq_u32 s9, 0
	s_cselect_b32 s3, ttmp9, s8
	s_delay_alu instid0(SALU_CYCLE_1) | instskip(SKIP_1) | instid1(VALU_DEP_1)
	v_mad_u32 v4, s3, s2, v0
	s_mov_b32 s2, exec_lo
	v_cmpx_gt_u64_e64 s[6:7], v[4:5]
	s_cbranch_execz .LBB49_14
; %bb.1:
	s_load_b64 s[0:1], s[0:1], 0x10
	s_mov_b32 s2, exec_lo
	s_wait_kmcnt 0x0
	v_add_nc_u64_e32 v[0:1], s[0:1], v[4:5]
	s_mov_b32 s0, 0x19660d
	v_mov_b32_e32 v4, 0x80
	s_delay_alu instid0(VALU_DEP_2) | instskip(SKIP_1) | instid1(VALU_DEP_1)
	v_mad_nc_u64_u32 v[2:3], v0, s0, 0x3c6ef35f
	s_mov_b64 s[0:1], 0x41efffffffe00000
	v_mad_u32 v3, 0x19660d, v1, v3
	s_delay_alu instid0(VALU_DEP_1) | instskip(NEXT) | instid1(VALU_DEP_1)
	v_lshlrev_b64_e32 v[6:7], 13, v[2:3]
	v_xor_b32_e32 v3, v7, v3
	s_delay_alu instid0(VALU_DEP_2) | instskip(NEXT) | instid1(VALU_DEP_1)
	v_xor_b32_e32 v2, v6, v2
	v_lshrrev_b64 v[6:7], 17, v[2:3]
	s_delay_alu instid0(VALU_DEP_1) | instskip(NEXT) | instid1(VALU_DEP_2)
	v_xor_b32_e32 v3, v7, v3
	v_xor_b32_e32 v2, v6, v2
	s_delay_alu instid0(VALU_DEP_1) | instskip(NEXT) | instid1(VALU_DEP_1)
	v_lshlrev_b64_e32 v[6:7], 5, v[2:3]
	v_xor_b32_e32 v3, v7, v3
	s_delay_alu instid0(VALU_DEP_2) | instskip(NEXT) | instid1(VALU_DEP_1)
	v_xor_b32_e32 v2, v6, v2
	v_lshlrev_b64_e32 v[6:7], 13, v[2:3]
	s_delay_alu instid0(VALU_DEP_1) | instskip(NEXT) | instid1(VALU_DEP_2)
	v_xor_b32_e32 v3, v7, v3
	v_xor_b32_e32 v2, v6, v2
	s_delay_alu instid0(VALU_DEP_1) | instskip(NEXT) | instid1(VALU_DEP_1)
	v_lshrrev_b64 v[6:7], 17, v[2:3]
	v_xor_b32_e32 v3, v7, v3
	s_delay_alu instid0(VALU_DEP_2) | instskip(NEXT) | instid1(VALU_DEP_1)
	v_xor_b32_e32 v2, v6, v2
	v_lshlrev_b64_e32 v[6:7], 5, v[2:3]
	s_delay_alu instid0(VALU_DEP_1) | instskip(NEXT) | instid1(VALU_DEP_2)
	v_xor_b32_e32 v3, v7, v3
	v_xor_b32_e32 v2, v6, v2
	s_delay_alu instid0(VALU_DEP_1) | instskip(NEXT) | instid1(VALU_DEP_1)
	v_lshlrev_b64_e32 v[6:7], 13, v[2:3]
	v_xor_b32_e32 v3, v7, v3
	s_delay_alu instid0(VALU_DEP_2) | instskip(NEXT) | instid1(VALU_DEP_1)
	v_xor_b32_e32 v2, v6, v2
	v_alignbit_b32 v3, v3, v2, 17
	s_delay_alu instid0(VALU_DEP_1) | instskip(NEXT) | instid1(VALU_DEP_1)
	v_xor_b32_e32 v2, v3, v2
	v_lshlrev_b32_e32 v3, 5, v2
	s_delay_alu instid0(VALU_DEP_1) | instskip(NEXT) | instid1(VALU_DEP_1)
	v_xor_b32_e32 v2, v3, v2
	v_cvt_f64_u32_e32 v[2:3], v2
	s_delay_alu instid0(VALU_DEP_1) | instskip(SKIP_1) | instid1(VALU_DEP_2)
	v_div_scale_f64 v[6:7], null, s[0:1], s[0:1], v[2:3]
	v_div_scale_f64 v[12:13], vcc_lo, v[2:3], s[0:1], v[2:3]
	v_rcp_f64_e32 v[8:9], v[6:7]
	v_nop
	s_delay_alu instid0(TRANS32_DEP_1) | instskip(NEXT) | instid1(VALU_DEP_1)
	v_fma_f64 v[10:11], -v[6:7], v[8:9], 1.0
	v_fmac_f64_e32 v[8:9], v[8:9], v[10:11]
	s_delay_alu instid0(VALU_DEP_1) | instskip(NEXT) | instid1(VALU_DEP_1)
	v_fma_f64 v[10:11], -v[6:7], v[8:9], 1.0
	v_fmac_f64_e32 v[8:9], v[8:9], v[10:11]
	s_delay_alu instid0(VALU_DEP_1) | instskip(NEXT) | instid1(VALU_DEP_1)
	v_mul_f64_e32 v[10:11], v[12:13], v[8:9]
	v_fma_f64 v[6:7], -v[6:7], v[10:11], v[12:13]
	s_delay_alu instid0(VALU_DEP_1) | instskip(NEXT) | instid1(VALU_DEP_1)
	v_div_fmas_f64 v[6:7], v[6:7], v[8:9], v[10:11]
	v_div_fixup_f64 v[2:3], v[6:7], s[0:1], v[2:3]
	v_mov_b32_e32 v6, v5
	s_mov_b64 s[0:1], 0x7ff0000000000000
	s_delay_alu instid0(VALU_DEP_2) | instskip(NEXT) | instid1(VALU_DEP_1)
	v_add_f64_e32 v[2:3], -0.5, v[2:3]
	v_and_b32_e32 v7, 0x7ff00000, v3
	s_delay_alu instid0(VALU_DEP_1)
	v_cmpx_ne_u64_e64 s[0:1], v[6:7]
	s_cbranch_execz .LBB49_13
; %bb.2:
	v_and_b32_e32 v5, 0x7fffffff, v3
	s_delay_alu instid0(VALU_DEP_4)
	v_mov_b32_e32 v4, v2
	s_mov_b64 s[0:1], 0x406e000000000001
	s_delay_alu instid0(VALU_DEP_1) | instid1(SALU_CYCLE_1)
	v_cmp_gt_u64_e32 vcc_lo, s[0:1], v[4:5]
                                        ; implicit-def: $vgpr4
	s_and_saveexec_b32 s0, vcc_lo
	s_delay_alu instid0(SALU_CYCLE_1)
	s_xor_b32 s3, exec_lo, s0
	s_cbranch_execz .LBB49_10
; %bb.3:
	v_mov_b32_e32 v4, 0
	s_mov_b32 s6, exec_lo
	v_cmpx_ne_u64_e32 0, v[2:3]
	s_cbranch_execz .LBB49_9
; %bb.4:
	v_bfe_u32 v14, v3, 20, 11
	v_and_b32_e32 v5, 0xfffff, v3
	s_mov_b32 s7, 0
	s_delay_alu instid0(VALU_DEP_2) | instskip(SKIP_1) | instid1(VALU_DEP_3)
	v_sub_nc_u32_e64 v4, 0x3f8, v14 clamp
	v_cmp_eq_u32_e32 vcc_lo, 0, v14
	v_or_b32_e32 v6, 0x100000, v5
	s_delay_alu instid0(VALU_DEP_3) | instskip(SKIP_1) | instid1(VALU_DEP_2)
	v_cndmask_b32_e64 v15, v4, 0x3f7, vcc_lo
	v_mov_b32_e32 v4, v2
	v_dual_cndmask_b32 v5, v6, v5, vcc_lo :: v_dual_add_nc_u32 v7, 48, v15
	v_add_nc_u32_e32 v6, 49, v15
	s_delay_alu instid0(VALU_DEP_2) | instskip(NEXT) | instid1(VALU_DEP_3)
	v_lshrrev_b64 v[10:11], v15, v[4:5]
	v_lshlrev_b64_e64 v[12:13], v7, 1
	s_delay_alu instid0(VALU_DEP_3) | instskip(SKIP_1) | instid1(VALU_DEP_4)
	v_lshlrev_b64_e64 v[8:9], v6, -1
	v_mov_b32_e32 v6, 0
	v_and_b32_e32 v7, 0x20000, v11
	s_delay_alu instid0(VALU_DEP_3) | instskip(NEXT) | instid1(VALU_DEP_4)
	v_bfi_b32 v5, v9, 0, v5
	v_bfi_b32 v4, v8, 0, v2
	v_add_nc_u32_e32 v2, 0xfffffc09, v14
	s_delay_alu instid0(VALU_DEP_2) | instskip(SKIP_2) | instid1(VALU_DEP_4)
	v_cmp_eq_u64_e64 s1, v[4:5], v[12:13]
	v_mov_b32_e32 v5, s7
	v_cmp_eq_u64_e64 s0, 0, v[6:7]
	v_cndmask_b32_e64 v2, v2, 0xfffffc0a, vcc_lo
	v_lshrrev_b32_e32 v7, 20, v11
	s_and_b32 s0, s0, s1
	s_delay_alu instid0(VALU_DEP_1) | instskip(SKIP_2) | instid1(VALU_DEP_2)
	v_add3_u32 v8, v2, v15, v7
	v_cndmask_b32_e64 v4, 0, 1, s0
	s_mov_b32 s0, exec_lo
                                        ; implicit-def: $vgpr2
	v_add_nc_u32_e32 v9, -1, v8
	s_delay_alu instid0(VALU_DEP_2) | instskip(NEXT) | instid1(VALU_DEP_1)
	v_sub_nc_u64_e32 v[4:5], v[10:11], v[4:5]
	v_and_b32_e32 v5, 0x1ffff, v5
	s_delay_alu instid0(VALU_DEP_1) | instskip(NEXT) | instid1(VALU_DEP_4)
	v_add_nc_u64_e32 v[4:5], v[4:5], v[10:11]
	v_cmpx_ne_u32_e32 0, v9
	s_xor_b32 s0, exec_lo, s0
; %bb.5:
	s_delay_alu instid0(VALU_DEP_2) | instskip(SKIP_1) | instid1(VALU_DEP_2)
	v_and_b32_e32 v7, 0x200000, v5
	v_bfe_u32 v2, v5, 21, 1
	v_cmp_eq_u64_e32 vcc_lo, 0, v[6:7]
	s_delay_alu instid0(VALU_DEP_2)
	v_lshrrev_b64 v[4:5], v2, v[4:5]
	v_cndmask_b32_e32 v2, v8, v9, vcc_lo
; %bb.6:
	s_and_not1_saveexec_b32 s0, s0
; %bb.7:
	s_delay_alu instid0(VALU_DEP_2)
	v_bfe_u32 v2, v5, 20, 1
; %bb.8:
	s_or_b32 exec_lo, exec_lo, s0
	v_dual_lshrrev_b32 v3, 24, v3 :: v_dual_lshrrev_b32 v4, 17, v5
	s_delay_alu instid0(VALU_DEP_2) | instskip(SKIP_1) | instid1(VALU_DEP_3)
	v_cmp_gt_i32_e32 vcc_lo, 16, v2
	v_dual_mov_b32 v5, 0 :: v_dual_min_i32 v6, 15, v2
	v_and_b32_e32 v3, 0x80, v3
	v_cmp_eq_u32_e64 s0, 0, v2
	v_cndmask_b32_e32 v4, 7, v4, vcc_lo
	s_delay_alu instid0(VALU_DEP_3) | instskip(NEXT) | instid1(VALU_DEP_2)
	v_lshl_or_b32 v3, v6, 3, v3
	v_cmp_eq_u64_e32 vcc_lo, 0, v[4:5]
	s_delay_alu instid0(VALU_DEP_2)
	v_and_or_b32 v2, v4, 7, v3
	s_and_b32 s0, s0, vcc_lo
	s_delay_alu instid0(VALU_DEP_1) | instid1(SALU_CYCLE_1)
	v_cndmask_b32_e64 v4, v2, 0, s0
.LBB49_9:
	s_or_b32 exec_lo, exec_lo, s6
                                        ; implicit-def: $vgpr2_vgpr3
.LBB49_10:
	s_and_not1_saveexec_b32 s0, s3
; %bb.11:
	v_lshrrev_b32_e32 v2, 24, v3
	s_delay_alu instid0(VALU_DEP_1)
	v_or_b32_e32 v4, 0x7f, v2
; %bb.12:
	s_or_b32 exec_lo, exec_lo, s0
.LBB49_13:
	s_delay_alu instid0(SALU_CYCLE_1)
	s_or_b32 exec_lo, exec_lo, s2
	v_add_nc_u64_e32 v[0:1], s[4:5], v[0:1]
	global_store_b8 v[0:1], v4, off
.LBB49_14:
	s_endpgm
	.section	.rodata,"a",@progbits
	.p2align	6, 0x0
	.amdhsa_kernel _Z11fill_kernelI17hipblaslt_f8_fnuzZ21hipblaslt_init_deviceIS0_Ev8ABC_dims24hipblaslt_initializationbPT_mmmmmEUlmE4_EvS5_mmT0_
		.amdhsa_group_segment_fixed_size 0
		.amdhsa_private_segment_fixed_size 0
		.amdhsa_kernarg_size 288
		.amdhsa_user_sgpr_count 2
		.amdhsa_user_sgpr_dispatch_ptr 0
		.amdhsa_user_sgpr_queue_ptr 0
		.amdhsa_user_sgpr_kernarg_segment_ptr 1
		.amdhsa_user_sgpr_dispatch_id 0
		.amdhsa_user_sgpr_kernarg_preload_length 0
		.amdhsa_user_sgpr_kernarg_preload_offset 0
		.amdhsa_user_sgpr_private_segment_size 0
		.amdhsa_wavefront_size32 1
		.amdhsa_uses_dynamic_stack 0
		.amdhsa_enable_private_segment 0
		.amdhsa_system_sgpr_workgroup_id_x 1
		.amdhsa_system_sgpr_workgroup_id_y 0
		.amdhsa_system_sgpr_workgroup_id_z 0
		.amdhsa_system_sgpr_workgroup_info 0
		.amdhsa_system_vgpr_workitem_id 0
		.amdhsa_next_free_vgpr 16
		.amdhsa_next_free_sgpr 10
		.amdhsa_named_barrier_count 0
		.amdhsa_reserve_vcc 1
		.amdhsa_float_round_mode_32 0
		.amdhsa_float_round_mode_16_64 0
		.amdhsa_float_denorm_mode_32 3
		.amdhsa_float_denorm_mode_16_64 3
		.amdhsa_fp16_overflow 0
		.amdhsa_memory_ordered 1
		.amdhsa_forward_progress 1
		.amdhsa_inst_pref_size 8
		.amdhsa_round_robin_scheduling 0
		.amdhsa_exception_fp_ieee_invalid_op 0
		.amdhsa_exception_fp_denorm_src 0
		.amdhsa_exception_fp_ieee_div_zero 0
		.amdhsa_exception_fp_ieee_overflow 0
		.amdhsa_exception_fp_ieee_underflow 0
		.amdhsa_exception_fp_ieee_inexact 0
		.amdhsa_exception_int_div_zero 0
	.end_amdhsa_kernel
	.section	.text._Z11fill_kernelI17hipblaslt_f8_fnuzZ21hipblaslt_init_deviceIS0_Ev8ABC_dims24hipblaslt_initializationbPT_mmmmmEUlmE4_EvS5_mmT0_,"axG",@progbits,_Z11fill_kernelI17hipblaslt_f8_fnuzZ21hipblaslt_init_deviceIS0_Ev8ABC_dims24hipblaslt_initializationbPT_mmmmmEUlmE4_EvS5_mmT0_,comdat
.Lfunc_end49:
	.size	_Z11fill_kernelI17hipblaslt_f8_fnuzZ21hipblaslt_init_deviceIS0_Ev8ABC_dims24hipblaslt_initializationbPT_mmmmmEUlmE4_EvS5_mmT0_, .Lfunc_end49-_Z11fill_kernelI17hipblaslt_f8_fnuzZ21hipblaslt_init_deviceIS0_Ev8ABC_dims24hipblaslt_initializationbPT_mmmmmEUlmE4_EvS5_mmT0_
                                        ; -- End function
	.set _Z11fill_kernelI17hipblaslt_f8_fnuzZ21hipblaslt_init_deviceIS0_Ev8ABC_dims24hipblaslt_initializationbPT_mmmmmEUlmE4_EvS5_mmT0_.num_vgpr, 16
	.set _Z11fill_kernelI17hipblaslt_f8_fnuzZ21hipblaslt_init_deviceIS0_Ev8ABC_dims24hipblaslt_initializationbPT_mmmmmEUlmE4_EvS5_mmT0_.num_agpr, 0
	.set _Z11fill_kernelI17hipblaslt_f8_fnuzZ21hipblaslt_init_deviceIS0_Ev8ABC_dims24hipblaslt_initializationbPT_mmmmmEUlmE4_EvS5_mmT0_.numbered_sgpr, 10
	.set _Z11fill_kernelI17hipblaslt_f8_fnuzZ21hipblaslt_init_deviceIS0_Ev8ABC_dims24hipblaslt_initializationbPT_mmmmmEUlmE4_EvS5_mmT0_.num_named_barrier, 0
	.set _Z11fill_kernelI17hipblaslt_f8_fnuzZ21hipblaslt_init_deviceIS0_Ev8ABC_dims24hipblaslt_initializationbPT_mmmmmEUlmE4_EvS5_mmT0_.private_seg_size, 0
	.set _Z11fill_kernelI17hipblaslt_f8_fnuzZ21hipblaslt_init_deviceIS0_Ev8ABC_dims24hipblaslt_initializationbPT_mmmmmEUlmE4_EvS5_mmT0_.uses_vcc, 1
	.set _Z11fill_kernelI17hipblaslt_f8_fnuzZ21hipblaslt_init_deviceIS0_Ev8ABC_dims24hipblaslt_initializationbPT_mmmmmEUlmE4_EvS5_mmT0_.uses_flat_scratch, 0
	.set _Z11fill_kernelI17hipblaslt_f8_fnuzZ21hipblaslt_init_deviceIS0_Ev8ABC_dims24hipblaslt_initializationbPT_mmmmmEUlmE4_EvS5_mmT0_.has_dyn_sized_stack, 0
	.set _Z11fill_kernelI17hipblaslt_f8_fnuzZ21hipblaslt_init_deviceIS0_Ev8ABC_dims24hipblaslt_initializationbPT_mmmmmEUlmE4_EvS5_mmT0_.has_recursion, 0
	.set _Z11fill_kernelI17hipblaslt_f8_fnuzZ21hipblaslt_init_deviceIS0_Ev8ABC_dims24hipblaslt_initializationbPT_mmmmmEUlmE4_EvS5_mmT0_.has_indirect_call, 0
	.section	.AMDGPU.csdata,"",@progbits
; Kernel info:
; codeLenInByte = 1024
; TotalNumSgprs: 12
; NumVgprs: 16
; ScratchSize: 0
; MemoryBound: 0
; FloatMode: 240
; IeeeMode: 1
; LDSByteSize: 0 bytes/workgroup (compile time only)
; SGPRBlocks: 0
; VGPRBlocks: 0
; NumSGPRsForWavesPerEU: 12
; NumVGPRsForWavesPerEU: 16
; NamedBarCnt: 0
; Occupancy: 16
; WaveLimiterHint : 0
; COMPUTE_PGM_RSRC2:SCRATCH_EN: 0
; COMPUTE_PGM_RSRC2:USER_SGPR: 2
; COMPUTE_PGM_RSRC2:TRAP_HANDLER: 0
; COMPUTE_PGM_RSRC2:TGID_X_EN: 1
; COMPUTE_PGM_RSRC2:TGID_Y_EN: 0
; COMPUTE_PGM_RSRC2:TGID_Z_EN: 0
; COMPUTE_PGM_RSRC2:TIDIG_COMP_CNT: 0
	.section	.text._Z11fill_kernelI17hipblaslt_f8_fnuzZ21hipblaslt_init_deviceIS0_Ev8ABC_dims24hipblaslt_initializationbPT_mmmmmEUlmE5_EvS5_mmT0_,"axG",@progbits,_Z11fill_kernelI17hipblaslt_f8_fnuzZ21hipblaslt_init_deviceIS0_Ev8ABC_dims24hipblaslt_initializationbPT_mmmmmEUlmE5_EvS5_mmT0_,comdat
	.protected	_Z11fill_kernelI17hipblaslt_f8_fnuzZ21hipblaslt_init_deviceIS0_Ev8ABC_dims24hipblaslt_initializationbPT_mmmmmEUlmE5_EvS5_mmT0_ ; -- Begin function _Z11fill_kernelI17hipblaslt_f8_fnuzZ21hipblaslt_init_deviceIS0_Ev8ABC_dims24hipblaslt_initializationbPT_mmmmmEUlmE5_EvS5_mmT0_
	.globl	_Z11fill_kernelI17hipblaslt_f8_fnuzZ21hipblaslt_init_deviceIS0_Ev8ABC_dims24hipblaslt_initializationbPT_mmmmmEUlmE5_EvS5_mmT0_
	.p2align	8
	.type	_Z11fill_kernelI17hipblaslt_f8_fnuzZ21hipblaslt_init_deviceIS0_Ev8ABC_dims24hipblaslt_initializationbPT_mmmmmEUlmE5_EvS5_mmT0_,@function
_Z11fill_kernelI17hipblaslt_f8_fnuzZ21hipblaslt_init_deviceIS0_Ev8ABC_dims24hipblaslt_initializationbPT_mmmmmEUlmE5_EvS5_mmT0_: ; @_Z11fill_kernelI17hipblaslt_f8_fnuzZ21hipblaslt_init_deviceIS0_Ev8ABC_dims24hipblaslt_initializationbPT_mmmmmEUlmE5_EvS5_mmT0_
; %bb.0:
	s_clause 0x1
	s_load_b32 s2, s[0:1], 0x2c
	s_load_b128 s[4:7], s[0:1], 0x0
	s_bfe_u32 s3, ttmp6, 0x4000c
	s_and_b32 s8, ttmp6, 15
	s_add_co_i32 s3, s3, 1
	s_getreg_b32 s9, hwreg(HW_REG_IB_STS2, 6, 4)
	s_mul_i32 s3, ttmp9, s3
	v_mov_b32_e32 v1, 0
	s_add_co_i32 s8, s8, s3
	s_wait_kmcnt 0x0
	s_and_b32 s2, s2, 0xffff
	s_cmp_eq_u32 s9, 0
	s_cselect_b32 s3, ttmp9, s8
	s_delay_alu instid0(SALU_CYCLE_1) | instskip(SKIP_1) | instid1(VALU_DEP_1)
	v_mad_u32 v0, s3, s2, v0
	s_mov_b32 s2, exec_lo
	v_cmpx_gt_u64_e64 s[6:7], v[0:1]
	s_cbranch_execz .LBB50_2
; %bb.1:
	s_load_b64 s[0:1], s[0:1], 0x10
	v_mov_b32_e32 v2, 0x7f
	s_wait_kmcnt 0x0
	s_add_nc_u64 s[0:1], s[4:5], s[0:1]
	s_delay_alu instid0(SALU_CYCLE_1)
	v_add_nc_u64_e32 v[0:1], s[0:1], v[0:1]
	global_store_b8 v[0:1], v2, off
.LBB50_2:
	s_endpgm
	.section	.rodata,"a",@progbits
	.p2align	6, 0x0
	.amdhsa_kernel _Z11fill_kernelI17hipblaslt_f8_fnuzZ21hipblaslt_init_deviceIS0_Ev8ABC_dims24hipblaslt_initializationbPT_mmmmmEUlmE5_EvS5_mmT0_
		.amdhsa_group_segment_fixed_size 0
		.amdhsa_private_segment_fixed_size 0
		.amdhsa_kernarg_size 288
		.amdhsa_user_sgpr_count 2
		.amdhsa_user_sgpr_dispatch_ptr 0
		.amdhsa_user_sgpr_queue_ptr 0
		.amdhsa_user_sgpr_kernarg_segment_ptr 1
		.amdhsa_user_sgpr_dispatch_id 0
		.amdhsa_user_sgpr_kernarg_preload_length 0
		.amdhsa_user_sgpr_kernarg_preload_offset 0
		.amdhsa_user_sgpr_private_segment_size 0
		.amdhsa_wavefront_size32 1
		.amdhsa_uses_dynamic_stack 0
		.amdhsa_enable_private_segment 0
		.amdhsa_system_sgpr_workgroup_id_x 1
		.amdhsa_system_sgpr_workgroup_id_y 0
		.amdhsa_system_sgpr_workgroup_id_z 0
		.amdhsa_system_sgpr_workgroup_info 0
		.amdhsa_system_vgpr_workitem_id 0
		.amdhsa_next_free_vgpr 3
		.amdhsa_next_free_sgpr 10
		.amdhsa_named_barrier_count 0
		.amdhsa_reserve_vcc 0
		.amdhsa_float_round_mode_32 0
		.amdhsa_float_round_mode_16_64 0
		.amdhsa_float_denorm_mode_32 3
		.amdhsa_float_denorm_mode_16_64 3
		.amdhsa_fp16_overflow 0
		.amdhsa_memory_ordered 1
		.amdhsa_forward_progress 1
		.amdhsa_inst_pref_size 2
		.amdhsa_round_robin_scheduling 0
		.amdhsa_exception_fp_ieee_invalid_op 0
		.amdhsa_exception_fp_denorm_src 0
		.amdhsa_exception_fp_ieee_div_zero 0
		.amdhsa_exception_fp_ieee_overflow 0
		.amdhsa_exception_fp_ieee_underflow 0
		.amdhsa_exception_fp_ieee_inexact 0
		.amdhsa_exception_int_div_zero 0
	.end_amdhsa_kernel
	.section	.text._Z11fill_kernelI17hipblaslt_f8_fnuzZ21hipblaslt_init_deviceIS0_Ev8ABC_dims24hipblaslt_initializationbPT_mmmmmEUlmE5_EvS5_mmT0_,"axG",@progbits,_Z11fill_kernelI17hipblaslt_f8_fnuzZ21hipblaslt_init_deviceIS0_Ev8ABC_dims24hipblaslt_initializationbPT_mmmmmEUlmE5_EvS5_mmT0_,comdat
.Lfunc_end50:
	.size	_Z11fill_kernelI17hipblaslt_f8_fnuzZ21hipblaslt_init_deviceIS0_Ev8ABC_dims24hipblaslt_initializationbPT_mmmmmEUlmE5_EvS5_mmT0_, .Lfunc_end50-_Z11fill_kernelI17hipblaslt_f8_fnuzZ21hipblaslt_init_deviceIS0_Ev8ABC_dims24hipblaslt_initializationbPT_mmmmmEUlmE5_EvS5_mmT0_
                                        ; -- End function
	.set _Z11fill_kernelI17hipblaslt_f8_fnuzZ21hipblaslt_init_deviceIS0_Ev8ABC_dims24hipblaslt_initializationbPT_mmmmmEUlmE5_EvS5_mmT0_.num_vgpr, 3
	.set _Z11fill_kernelI17hipblaslt_f8_fnuzZ21hipblaslt_init_deviceIS0_Ev8ABC_dims24hipblaslt_initializationbPT_mmmmmEUlmE5_EvS5_mmT0_.num_agpr, 0
	.set _Z11fill_kernelI17hipblaslt_f8_fnuzZ21hipblaslt_init_deviceIS0_Ev8ABC_dims24hipblaslt_initializationbPT_mmmmmEUlmE5_EvS5_mmT0_.numbered_sgpr, 10
	.set _Z11fill_kernelI17hipblaslt_f8_fnuzZ21hipblaslt_init_deviceIS0_Ev8ABC_dims24hipblaslt_initializationbPT_mmmmmEUlmE5_EvS5_mmT0_.num_named_barrier, 0
	.set _Z11fill_kernelI17hipblaslt_f8_fnuzZ21hipblaslt_init_deviceIS0_Ev8ABC_dims24hipblaslt_initializationbPT_mmmmmEUlmE5_EvS5_mmT0_.private_seg_size, 0
	.set _Z11fill_kernelI17hipblaslt_f8_fnuzZ21hipblaslt_init_deviceIS0_Ev8ABC_dims24hipblaslt_initializationbPT_mmmmmEUlmE5_EvS5_mmT0_.uses_vcc, 0
	.set _Z11fill_kernelI17hipblaslt_f8_fnuzZ21hipblaslt_init_deviceIS0_Ev8ABC_dims24hipblaslt_initializationbPT_mmmmmEUlmE5_EvS5_mmT0_.uses_flat_scratch, 0
	.set _Z11fill_kernelI17hipblaslt_f8_fnuzZ21hipblaslt_init_deviceIS0_Ev8ABC_dims24hipblaslt_initializationbPT_mmmmmEUlmE5_EvS5_mmT0_.has_dyn_sized_stack, 0
	.set _Z11fill_kernelI17hipblaslt_f8_fnuzZ21hipblaslt_init_deviceIS0_Ev8ABC_dims24hipblaslt_initializationbPT_mmmmmEUlmE5_EvS5_mmT0_.has_recursion, 0
	.set _Z11fill_kernelI17hipblaslt_f8_fnuzZ21hipblaslt_init_deviceIS0_Ev8ABC_dims24hipblaslt_initializationbPT_mmmmmEUlmE5_EvS5_mmT0_.has_indirect_call, 0
	.section	.AMDGPU.csdata,"",@progbits
; Kernel info:
; codeLenInByte = 148
; TotalNumSgprs: 10
; NumVgprs: 3
; ScratchSize: 0
; MemoryBound: 0
; FloatMode: 240
; IeeeMode: 1
; LDSByteSize: 0 bytes/workgroup (compile time only)
; SGPRBlocks: 0
; VGPRBlocks: 0
; NumSGPRsForWavesPerEU: 10
; NumVGPRsForWavesPerEU: 3
; NamedBarCnt: 0
; Occupancy: 16
; WaveLimiterHint : 0
; COMPUTE_PGM_RSRC2:SCRATCH_EN: 0
; COMPUTE_PGM_RSRC2:USER_SGPR: 2
; COMPUTE_PGM_RSRC2:TRAP_HANDLER: 0
; COMPUTE_PGM_RSRC2:TGID_X_EN: 1
; COMPUTE_PGM_RSRC2:TGID_Y_EN: 0
; COMPUTE_PGM_RSRC2:TGID_Z_EN: 0
; COMPUTE_PGM_RSRC2:TIDIG_COMP_CNT: 0
	.section	.text._Z11fill_kernelI17hipblaslt_f8_fnuzZ21hipblaslt_init_deviceIS0_Ev8ABC_dims24hipblaslt_initializationbPT_mmmmmEUlmE6_EvS5_mmT0_,"axG",@progbits,_Z11fill_kernelI17hipblaslt_f8_fnuzZ21hipblaslt_init_deviceIS0_Ev8ABC_dims24hipblaslt_initializationbPT_mmmmmEUlmE6_EvS5_mmT0_,comdat
	.protected	_Z11fill_kernelI17hipblaslt_f8_fnuzZ21hipblaslt_init_deviceIS0_Ev8ABC_dims24hipblaslt_initializationbPT_mmmmmEUlmE6_EvS5_mmT0_ ; -- Begin function _Z11fill_kernelI17hipblaslt_f8_fnuzZ21hipblaslt_init_deviceIS0_Ev8ABC_dims24hipblaslt_initializationbPT_mmmmmEUlmE6_EvS5_mmT0_
	.globl	_Z11fill_kernelI17hipblaslt_f8_fnuzZ21hipblaslt_init_deviceIS0_Ev8ABC_dims24hipblaslt_initializationbPT_mmmmmEUlmE6_EvS5_mmT0_
	.p2align	8
	.type	_Z11fill_kernelI17hipblaslt_f8_fnuzZ21hipblaslt_init_deviceIS0_Ev8ABC_dims24hipblaslt_initializationbPT_mmmmmEUlmE6_EvS5_mmT0_,@function
_Z11fill_kernelI17hipblaslt_f8_fnuzZ21hipblaslt_init_deviceIS0_Ev8ABC_dims24hipblaslt_initializationbPT_mmmmmEUlmE6_EvS5_mmT0_: ; @_Z11fill_kernelI17hipblaslt_f8_fnuzZ21hipblaslt_init_deviceIS0_Ev8ABC_dims24hipblaslt_initializationbPT_mmmmmEUlmE6_EvS5_mmT0_
; %bb.0:
	s_clause 0x1
	s_load_b32 s2, s[0:1], 0x2c
	s_load_b128 s[4:7], s[0:1], 0x0
	s_bfe_u32 s3, ttmp6, 0x4000c
	s_and_b32 s8, ttmp6, 15
	s_add_co_i32 s3, s3, 1
	s_getreg_b32 s9, hwreg(HW_REG_IB_STS2, 6, 4)
	s_mul_i32 s3, ttmp9, s3
	v_mov_b32_e32 v1, 0
	s_add_co_i32 s8, s8, s3
	s_wait_kmcnt 0x0
	s_and_b32 s2, s2, 0xffff
	s_cmp_eq_u32 s9, 0
	s_cselect_b32 s3, ttmp9, s8
	s_delay_alu instid0(SALU_CYCLE_1) | instskip(SKIP_1) | instid1(VALU_DEP_1)
	v_mad_u32 v0, s3, s2, v0
	s_mov_b32 s2, exec_lo
	v_cmpx_gt_u64_e64 s[6:7], v[0:1]
	s_cbranch_execz .LBB51_2
; %bb.1:
	s_load_b64 s[0:1], s[0:1], 0x10
	s_wait_kmcnt 0x0
	s_add_nc_u64 s[0:1], s[4:5], s[0:1]
	s_delay_alu instid0(SALU_CYCLE_1)
	v_add_nc_u64_e32 v[2:3], s[0:1], v[0:1]
	global_store_b8 v[2:3], v1, off
.LBB51_2:
	s_endpgm
	.section	.rodata,"a",@progbits
	.p2align	6, 0x0
	.amdhsa_kernel _Z11fill_kernelI17hipblaslt_f8_fnuzZ21hipblaslt_init_deviceIS0_Ev8ABC_dims24hipblaslt_initializationbPT_mmmmmEUlmE6_EvS5_mmT0_
		.amdhsa_group_segment_fixed_size 0
		.amdhsa_private_segment_fixed_size 0
		.amdhsa_kernarg_size 288
		.amdhsa_user_sgpr_count 2
		.amdhsa_user_sgpr_dispatch_ptr 0
		.amdhsa_user_sgpr_queue_ptr 0
		.amdhsa_user_sgpr_kernarg_segment_ptr 1
		.amdhsa_user_sgpr_dispatch_id 0
		.amdhsa_user_sgpr_kernarg_preload_length 0
		.amdhsa_user_sgpr_kernarg_preload_offset 0
		.amdhsa_user_sgpr_private_segment_size 0
		.amdhsa_wavefront_size32 1
		.amdhsa_uses_dynamic_stack 0
		.amdhsa_enable_private_segment 0
		.amdhsa_system_sgpr_workgroup_id_x 1
		.amdhsa_system_sgpr_workgroup_id_y 0
		.amdhsa_system_sgpr_workgroup_id_z 0
		.amdhsa_system_sgpr_workgroup_info 0
		.amdhsa_system_vgpr_workitem_id 0
		.amdhsa_next_free_vgpr 4
		.amdhsa_next_free_sgpr 10
		.amdhsa_named_barrier_count 0
		.amdhsa_reserve_vcc 0
		.amdhsa_float_round_mode_32 0
		.amdhsa_float_round_mode_16_64 0
		.amdhsa_float_denorm_mode_32 3
		.amdhsa_float_denorm_mode_16_64 3
		.amdhsa_fp16_overflow 0
		.amdhsa_memory_ordered 1
		.amdhsa_forward_progress 1
		.amdhsa_inst_pref_size 2
		.amdhsa_round_robin_scheduling 0
		.amdhsa_exception_fp_ieee_invalid_op 0
		.amdhsa_exception_fp_denorm_src 0
		.amdhsa_exception_fp_ieee_div_zero 0
		.amdhsa_exception_fp_ieee_overflow 0
		.amdhsa_exception_fp_ieee_underflow 0
		.amdhsa_exception_fp_ieee_inexact 0
		.amdhsa_exception_int_div_zero 0
	.end_amdhsa_kernel
	.section	.text._Z11fill_kernelI17hipblaslt_f8_fnuzZ21hipblaslt_init_deviceIS0_Ev8ABC_dims24hipblaslt_initializationbPT_mmmmmEUlmE6_EvS5_mmT0_,"axG",@progbits,_Z11fill_kernelI17hipblaslt_f8_fnuzZ21hipblaslt_init_deviceIS0_Ev8ABC_dims24hipblaslt_initializationbPT_mmmmmEUlmE6_EvS5_mmT0_,comdat
.Lfunc_end51:
	.size	_Z11fill_kernelI17hipblaslt_f8_fnuzZ21hipblaslt_init_deviceIS0_Ev8ABC_dims24hipblaslt_initializationbPT_mmmmmEUlmE6_EvS5_mmT0_, .Lfunc_end51-_Z11fill_kernelI17hipblaslt_f8_fnuzZ21hipblaslt_init_deviceIS0_Ev8ABC_dims24hipblaslt_initializationbPT_mmmmmEUlmE6_EvS5_mmT0_
                                        ; -- End function
	.set _Z11fill_kernelI17hipblaslt_f8_fnuzZ21hipblaslt_init_deviceIS0_Ev8ABC_dims24hipblaslt_initializationbPT_mmmmmEUlmE6_EvS5_mmT0_.num_vgpr, 4
	.set _Z11fill_kernelI17hipblaslt_f8_fnuzZ21hipblaslt_init_deviceIS0_Ev8ABC_dims24hipblaslt_initializationbPT_mmmmmEUlmE6_EvS5_mmT0_.num_agpr, 0
	.set _Z11fill_kernelI17hipblaslt_f8_fnuzZ21hipblaslt_init_deviceIS0_Ev8ABC_dims24hipblaslt_initializationbPT_mmmmmEUlmE6_EvS5_mmT0_.numbered_sgpr, 10
	.set _Z11fill_kernelI17hipblaslt_f8_fnuzZ21hipblaslt_init_deviceIS0_Ev8ABC_dims24hipblaslt_initializationbPT_mmmmmEUlmE6_EvS5_mmT0_.num_named_barrier, 0
	.set _Z11fill_kernelI17hipblaslt_f8_fnuzZ21hipblaslt_init_deviceIS0_Ev8ABC_dims24hipblaslt_initializationbPT_mmmmmEUlmE6_EvS5_mmT0_.private_seg_size, 0
	.set _Z11fill_kernelI17hipblaslt_f8_fnuzZ21hipblaslt_init_deviceIS0_Ev8ABC_dims24hipblaslt_initializationbPT_mmmmmEUlmE6_EvS5_mmT0_.uses_vcc, 0
	.set _Z11fill_kernelI17hipblaslt_f8_fnuzZ21hipblaslt_init_deviceIS0_Ev8ABC_dims24hipblaslt_initializationbPT_mmmmmEUlmE6_EvS5_mmT0_.uses_flat_scratch, 0
	.set _Z11fill_kernelI17hipblaslt_f8_fnuzZ21hipblaslt_init_deviceIS0_Ev8ABC_dims24hipblaslt_initializationbPT_mmmmmEUlmE6_EvS5_mmT0_.has_dyn_sized_stack, 0
	.set _Z11fill_kernelI17hipblaslt_f8_fnuzZ21hipblaslt_init_deviceIS0_Ev8ABC_dims24hipblaslt_initializationbPT_mmmmmEUlmE6_EvS5_mmT0_.has_recursion, 0
	.set _Z11fill_kernelI17hipblaslt_f8_fnuzZ21hipblaslt_init_deviceIS0_Ev8ABC_dims24hipblaslt_initializationbPT_mmmmmEUlmE6_EvS5_mmT0_.has_indirect_call, 0
	.section	.AMDGPU.csdata,"",@progbits
; Kernel info:
; codeLenInByte = 140
; TotalNumSgprs: 10
; NumVgprs: 4
; ScratchSize: 0
; MemoryBound: 0
; FloatMode: 240
; IeeeMode: 1
; LDSByteSize: 0 bytes/workgroup (compile time only)
; SGPRBlocks: 0
; VGPRBlocks: 0
; NumSGPRsForWavesPerEU: 10
; NumVGPRsForWavesPerEU: 4
; NamedBarCnt: 0
; Occupancy: 16
; WaveLimiterHint : 0
; COMPUTE_PGM_RSRC2:SCRATCH_EN: 0
; COMPUTE_PGM_RSRC2:USER_SGPR: 2
; COMPUTE_PGM_RSRC2:TRAP_HANDLER: 0
; COMPUTE_PGM_RSRC2:TGID_X_EN: 1
; COMPUTE_PGM_RSRC2:TGID_Y_EN: 0
; COMPUTE_PGM_RSRC2:TGID_Z_EN: 0
; COMPUTE_PGM_RSRC2:TIDIG_COMP_CNT: 0
	.section	.text._Z11fill_kernelI17hipblaslt_f8_fnuzZ21hipblaslt_init_deviceIS0_Ev8ABC_dims24hipblaslt_initializationbPT_mmmmmEUlmE7_EvS5_mmT0_,"axG",@progbits,_Z11fill_kernelI17hipblaslt_f8_fnuzZ21hipblaslt_init_deviceIS0_Ev8ABC_dims24hipblaslt_initializationbPT_mmmmmEUlmE7_EvS5_mmT0_,comdat
	.protected	_Z11fill_kernelI17hipblaslt_f8_fnuzZ21hipblaslt_init_deviceIS0_Ev8ABC_dims24hipblaslt_initializationbPT_mmmmmEUlmE7_EvS5_mmT0_ ; -- Begin function _Z11fill_kernelI17hipblaslt_f8_fnuzZ21hipblaslt_init_deviceIS0_Ev8ABC_dims24hipblaslt_initializationbPT_mmmmmEUlmE7_EvS5_mmT0_
	.globl	_Z11fill_kernelI17hipblaslt_f8_fnuzZ21hipblaslt_init_deviceIS0_Ev8ABC_dims24hipblaslt_initializationbPT_mmmmmEUlmE7_EvS5_mmT0_
	.p2align	8
	.type	_Z11fill_kernelI17hipblaslt_f8_fnuzZ21hipblaslt_init_deviceIS0_Ev8ABC_dims24hipblaslt_initializationbPT_mmmmmEUlmE7_EvS5_mmT0_,@function
_Z11fill_kernelI17hipblaslt_f8_fnuzZ21hipblaslt_init_deviceIS0_Ev8ABC_dims24hipblaslt_initializationbPT_mmmmmEUlmE7_EvS5_mmT0_: ; @_Z11fill_kernelI17hipblaslt_f8_fnuzZ21hipblaslt_init_deviceIS0_Ev8ABC_dims24hipblaslt_initializationbPT_mmmmmEUlmE7_EvS5_mmT0_
; %bb.0:
	s_clause 0x1
	s_load_b32 s2, s[0:1], 0x2c
	s_load_b128 s[4:7], s[0:1], 0x0
	s_bfe_u32 s3, ttmp6, 0x4000c
	s_and_b32 s8, ttmp6, 15
	s_add_co_i32 s3, s3, 1
	s_getreg_b32 s9, hwreg(HW_REG_IB_STS2, 6, 4)
	s_mul_i32 s3, ttmp9, s3
	v_mov_b32_e32 v3, 0
	s_add_co_i32 s8, s8, s3
	s_wait_kmcnt 0x0
	s_and_b32 s2, s2, 0xffff
	s_cmp_eq_u32 s9, 0
	s_cselect_b32 s3, ttmp9, s8
	s_delay_alu instid0(SALU_CYCLE_1) | instskip(SKIP_1) | instid1(VALU_DEP_1)
	v_mad_u32 v2, s3, s2, v0
	s_mov_b32 s2, exec_lo
	v_cmpx_gt_u64_e64 s[6:7], v[2:3]
	s_cbranch_execz .LBB52_10
; %bb.1:
	s_load_b64 s[0:1], s[0:1], 0x10
	s_wait_kmcnt 0x0
	v_add_nc_u64_e32 v[0:1], s[0:1], v[2:3]
	s_mov_b32 s0, 0x19660d
	s_delay_alu instid0(VALU_DEP_1) | instid1(SALU_CYCLE_1)
	v_mad_nc_u64_u32 v[4:5], v0, s0, 0x3c6ef35f
	s_delay_alu instid0(VALU_DEP_1) | instskip(NEXT) | instid1(VALU_DEP_1)
	v_mad_u32 v5, 0x19660d, v1, v5
	v_lshlrev_b64_e32 v[6:7], 13, v[4:5]
	s_delay_alu instid0(VALU_DEP_1) | instskip(NEXT) | instid1(VALU_DEP_2)
	v_xor_b32_e32 v5, v7, v5
	v_xor_b32_e32 v4, v6, v4
	s_delay_alu instid0(VALU_DEP_1) | instskip(NEXT) | instid1(VALU_DEP_1)
	v_lshrrev_b64 v[6:7], 17, v[4:5]
	v_xor_b32_e32 v5, v7, v5
	s_delay_alu instid0(VALU_DEP_2) | instskip(NEXT) | instid1(VALU_DEP_1)
	v_xor_b32_e32 v4, v6, v4
	v_lshlrev_b64_e32 v[6:7], 5, v[4:5]
	s_delay_alu instid0(VALU_DEP_1) | instskip(NEXT) | instid1(VALU_DEP_2)
	v_xor_b32_e32 v5, v7, v5
	v_xor_b32_e32 v4, v6, v4
	s_delay_alu instid0(VALU_DEP_1) | instskip(NEXT) | instid1(VALU_DEP_1)
	v_lshlrev_b64_e32 v[6:7], 13, v[4:5]
	v_xor_b32_e32 v5, v7, v5
	s_delay_alu instid0(VALU_DEP_2) | instskip(NEXT) | instid1(VALU_DEP_1)
	v_xor_b32_e32 v4, v6, v4
	v_lshrrev_b64 v[6:7], 17, v[4:5]
	s_delay_alu instid0(VALU_DEP_1) | instskip(NEXT) | instid1(VALU_DEP_2)
	v_xor_b32_e32 v5, v7, v5
	v_xor_b32_e32 v4, v6, v4
	s_delay_alu instid0(VALU_DEP_1) | instskip(NEXT) | instid1(VALU_DEP_1)
	v_lshlrev_b64_e32 v[6:7], 5, v[4:5]
	v_xor_b32_e32 v5, v7, v5
	s_delay_alu instid0(VALU_DEP_2) | instskip(NEXT) | instid1(VALU_DEP_1)
	v_xor_b32_e32 v4, v6, v4
	v_lshlrev_b64_e32 v[6:7], 13, v[4:5]
	s_delay_alu instid0(VALU_DEP_1) | instskip(NEXT) | instid1(VALU_DEP_2)
	v_xor_b32_e32 v2, v7, v5
	v_xor_b32_e32 v4, v6, v4
	s_delay_alu instid0(VALU_DEP_1) | instskip(NEXT) | instid1(VALU_DEP_1)
	v_alignbit_b32 v2, v2, v4, 17
	v_xor_b32_e32 v2, v2, v4
	s_delay_alu instid0(VALU_DEP_1) | instskip(NEXT) | instid1(VALU_DEP_1)
	v_lshlrev_b32_e32 v4, 5, v2
	v_xor_b32_e32 v2, v4, v2
	s_delay_alu instid0(VALU_DEP_1) | instskip(NEXT) | instid1(VALU_DEP_1)
	v_mul_hi_u32 v4, 0xcccccccd, v2
	v_lshrrev_b32_e32 v4, 3, v4
	s_delay_alu instid0(VALU_DEP_1) | instskip(NEXT) | instid1(VALU_DEP_1)
	v_mul_lo_u32 v4, v4, 10
	v_sub_nc_u32_e32 v2, v2, v4
	s_delay_alu instid0(VALU_DEP_1) | instskip(NEXT) | instid1(VALU_DEP_1)
	v_add_nc_u32_e32 v2, 1, v2
	v_cvt_f32_u32_e32 v4, v2
	s_delay_alu instid0(VALU_DEP_1) | instskip(NEXT) | instid1(VALU_DEP_1)
	v_and_b32_e32 v2, 0x7f800000, v4
	v_cmp_ne_u64_e32 vcc_lo, 0x7f800000, v[2:3]
	v_mov_b32_e32 v2, 0x80
	s_and_saveexec_b32 s2, vcc_lo
	s_cbranch_execz .LBB52_9
; %bb.2:
	v_mov_b32_e32 v2, 0x7f
	s_mov_b32 s3, exec_lo
	v_cmpx_gt_u32_e32 0x43700001, v4
	s_cbranch_execz .LBB52_8
; %bb.3:
	v_lshrrev_b32_e32 v10, 23, v4
	v_and_b32_e32 v5, 0x7fffff, v4
	v_cmp_gt_u32_e32 vcc_lo, 0x800000, v4
	s_delay_alu instid0(VALU_DEP_3) | instskip(NEXT) | instid1(VALU_DEP_1)
	v_sub_nc_u32_e64 v2, 0x78, v10 clamp
	v_cndmask_b32_e64 v11, v2, 0x77, vcc_lo
	s_delay_alu instid0(VALU_DEP_4) | instskip(NEXT) | instid1(VALU_DEP_2)
	v_or_b32_e32 v2, 0x800000, v5
	v_dual_mov_b32 v3, 0 :: v_dual_add_nc_u32 v4, 20, v11
	s_delay_alu instid0(VALU_DEP_2) | instskip(NEXT) | instid1(VALU_DEP_2)
	v_cndmask_b32_e32 v2, v2, v5, vcc_lo
	v_lshlrev_b64_e64 v[4:5], v4, -1
	s_delay_alu instid0(VALU_DEP_2) | instskip(SKIP_2) | instid1(VALU_DEP_2)
	v_lshrrev_b64 v[8:9], v11, v[2:3]
	v_add_nc_u32_e32 v6, 19, v11
	v_add_nc_u32_e32 v9, 0xffffff89, v10
	v_lshlrev_b64_e64 v[6:7], v6, 1
	v_bfi_b32 v5, v5, 0, 0
	v_bfi_b32 v4, v4, 0, v2
	v_and_b32_e32 v2, 0x100000, v8
	s_delay_alu instid0(VALU_DEP_2) | instskip(NEXT) | instid1(VALU_DEP_2)
	v_cmp_eq_u64_e64 s0, v[4:5], v[6:7]
	v_cmp_eq_u64_e64 s1, 0, v[2:3]
	v_cndmask_b32_e64 v2, v9, 0xffffff8a, vcc_lo
	v_lshrrev_b32_e32 v4, 23, v8
	s_delay_alu instid0(VALU_DEP_1) | instskip(SKIP_3) | instid1(VALU_DEP_1)
	v_add3_u32 v5, v2, v11, v4
	s_and_b32 vcc_lo, s1, s0
	s_mov_b32 s0, exec_lo
	v_subrev_co_ci_u32_e64 v6, null, 0, v8, vcc_lo
                                        ; implicit-def: $vgpr4
	v_and_b32_e32 v2, 0xfffff, v6
	s_delay_alu instid0(VALU_DEP_1) | instskip(NEXT) | instid1(VALU_DEP_1)
	v_dual_add_nc_u32 v6, -1, v5 :: v_dual_add_nc_u32 v2, v2, v8
	v_cmpx_ne_u32_e32 0, v6
	s_xor_b32 s0, exec_lo, s0
	s_cbranch_execz .LBB52_5
; %bb.4:
	s_delay_alu instid0(VALU_DEP_2) | instskip(SKIP_2) | instid1(VALU_DEP_2)
	v_and_b32_e32 v8, 0x1000000, v2
	v_mov_b32_e32 v9, v3
	v_bfe_u32 v4, v2, 24, 1
	v_cmp_eq_u64_e32 vcc_lo, 0, v[8:9]
	s_delay_alu instid0(VALU_DEP_2)
	v_lshrrev_b64 v[2:3], v4, v[2:3]
	v_cndmask_b32_e32 v4, v5, v6, vcc_lo
.LBB52_5:
	s_and_not1_saveexec_b32 s0, s0
; %bb.6:
	s_delay_alu instid0(VALU_DEP_2)
	v_bfe_u32 v4, v2, 23, 1
; %bb.7:
	s_or_b32 exec_lo, exec_lo, s0
	s_delay_alu instid0(VALU_DEP_3) | instskip(NEXT) | instid1(VALU_DEP_2)
	v_lshrrev_b64 v[2:3], 20, v[2:3]
	v_cmp_gt_i32_e32 vcc_lo, 16, v4
	v_min_i32_e32 v5, 15, v4
	v_cmp_eq_u32_e64 s0, 0, v4
	s_delay_alu instid0(VALU_DEP_4) | instskip(NEXT) | instid1(VALU_DEP_3)
	v_dual_cndmask_b32 v3, 0, v3 :: v_dual_cndmask_b32 v2, 7, v2
	v_lshlrev_b32_e32 v5, 3, v5
	s_delay_alu instid0(VALU_DEP_2) | instskip(NEXT) | instid1(VALU_DEP_2)
	v_cmp_eq_u64_e32 vcc_lo, 0, v[2:3]
	v_and_or_b32 v2, v2, 7, v5
	s_and_b32 s0, s0, vcc_lo
	s_delay_alu instid0(VALU_DEP_1) | instid1(SALU_CYCLE_1)
	v_cndmask_b32_e64 v2, v2, 0, s0
.LBB52_8:
	s_or_b32 exec_lo, exec_lo, s3
.LBB52_9:
	s_delay_alu instid0(SALU_CYCLE_1)
	s_or_b32 exec_lo, exec_lo, s2
	v_add_nc_u64_e32 v[0:1], s[4:5], v[0:1]
	global_store_b8 v[0:1], v2, off
.LBB52_10:
	s_endpgm
	.section	.rodata,"a",@progbits
	.p2align	6, 0x0
	.amdhsa_kernel _Z11fill_kernelI17hipblaslt_f8_fnuzZ21hipblaslt_init_deviceIS0_Ev8ABC_dims24hipblaslt_initializationbPT_mmmmmEUlmE7_EvS5_mmT0_
		.amdhsa_group_segment_fixed_size 0
		.amdhsa_private_segment_fixed_size 0
		.amdhsa_kernarg_size 288
		.amdhsa_user_sgpr_count 2
		.amdhsa_user_sgpr_dispatch_ptr 0
		.amdhsa_user_sgpr_queue_ptr 0
		.amdhsa_user_sgpr_kernarg_segment_ptr 1
		.amdhsa_user_sgpr_dispatch_id 0
		.amdhsa_user_sgpr_kernarg_preload_length 0
		.amdhsa_user_sgpr_kernarg_preload_offset 0
		.amdhsa_user_sgpr_private_segment_size 0
		.amdhsa_wavefront_size32 1
		.amdhsa_uses_dynamic_stack 0
		.amdhsa_enable_private_segment 0
		.amdhsa_system_sgpr_workgroup_id_x 1
		.amdhsa_system_sgpr_workgroup_id_y 0
		.amdhsa_system_sgpr_workgroup_id_z 0
		.amdhsa_system_sgpr_workgroup_info 0
		.amdhsa_system_vgpr_workitem_id 0
		.amdhsa_next_free_vgpr 12
		.amdhsa_next_free_sgpr 10
		.amdhsa_named_barrier_count 0
		.amdhsa_reserve_vcc 1
		.amdhsa_float_round_mode_32 0
		.amdhsa_float_round_mode_16_64 0
		.amdhsa_float_denorm_mode_32 3
		.amdhsa_float_denorm_mode_16_64 3
		.amdhsa_fp16_overflow 0
		.amdhsa_memory_ordered 1
		.amdhsa_forward_progress 1
		.amdhsa_inst_pref_size 7
		.amdhsa_round_robin_scheduling 0
		.amdhsa_exception_fp_ieee_invalid_op 0
		.amdhsa_exception_fp_denorm_src 0
		.amdhsa_exception_fp_ieee_div_zero 0
		.amdhsa_exception_fp_ieee_overflow 0
		.amdhsa_exception_fp_ieee_underflow 0
		.amdhsa_exception_fp_ieee_inexact 0
		.amdhsa_exception_int_div_zero 0
	.end_amdhsa_kernel
	.section	.text._Z11fill_kernelI17hipblaslt_f8_fnuzZ21hipblaslt_init_deviceIS0_Ev8ABC_dims24hipblaslt_initializationbPT_mmmmmEUlmE7_EvS5_mmT0_,"axG",@progbits,_Z11fill_kernelI17hipblaslt_f8_fnuzZ21hipblaslt_init_deviceIS0_Ev8ABC_dims24hipblaslt_initializationbPT_mmmmmEUlmE7_EvS5_mmT0_,comdat
.Lfunc_end52:
	.size	_Z11fill_kernelI17hipblaslt_f8_fnuzZ21hipblaslt_init_deviceIS0_Ev8ABC_dims24hipblaslt_initializationbPT_mmmmmEUlmE7_EvS5_mmT0_, .Lfunc_end52-_Z11fill_kernelI17hipblaslt_f8_fnuzZ21hipblaslt_init_deviceIS0_Ev8ABC_dims24hipblaslt_initializationbPT_mmmmmEUlmE7_EvS5_mmT0_
                                        ; -- End function
	.set _Z11fill_kernelI17hipblaslt_f8_fnuzZ21hipblaslt_init_deviceIS0_Ev8ABC_dims24hipblaslt_initializationbPT_mmmmmEUlmE7_EvS5_mmT0_.num_vgpr, 12
	.set _Z11fill_kernelI17hipblaslt_f8_fnuzZ21hipblaslt_init_deviceIS0_Ev8ABC_dims24hipblaslt_initializationbPT_mmmmmEUlmE7_EvS5_mmT0_.num_agpr, 0
	.set _Z11fill_kernelI17hipblaslt_f8_fnuzZ21hipblaslt_init_deviceIS0_Ev8ABC_dims24hipblaslt_initializationbPT_mmmmmEUlmE7_EvS5_mmT0_.numbered_sgpr, 10
	.set _Z11fill_kernelI17hipblaslt_f8_fnuzZ21hipblaslt_init_deviceIS0_Ev8ABC_dims24hipblaslt_initializationbPT_mmmmmEUlmE7_EvS5_mmT0_.num_named_barrier, 0
	.set _Z11fill_kernelI17hipblaslt_f8_fnuzZ21hipblaslt_init_deviceIS0_Ev8ABC_dims24hipblaslt_initializationbPT_mmmmmEUlmE7_EvS5_mmT0_.private_seg_size, 0
	.set _Z11fill_kernelI17hipblaslt_f8_fnuzZ21hipblaslt_init_deviceIS0_Ev8ABC_dims24hipblaslt_initializationbPT_mmmmmEUlmE7_EvS5_mmT0_.uses_vcc, 1
	.set _Z11fill_kernelI17hipblaslt_f8_fnuzZ21hipblaslt_init_deviceIS0_Ev8ABC_dims24hipblaslt_initializationbPT_mmmmmEUlmE7_EvS5_mmT0_.uses_flat_scratch, 0
	.set _Z11fill_kernelI17hipblaslt_f8_fnuzZ21hipblaslt_init_deviceIS0_Ev8ABC_dims24hipblaslt_initializationbPT_mmmmmEUlmE7_EvS5_mmT0_.has_dyn_sized_stack, 0
	.set _Z11fill_kernelI17hipblaslt_f8_fnuzZ21hipblaslt_init_deviceIS0_Ev8ABC_dims24hipblaslt_initializationbPT_mmmmmEUlmE7_EvS5_mmT0_.has_recursion, 0
	.set _Z11fill_kernelI17hipblaslt_f8_fnuzZ21hipblaslt_init_deviceIS0_Ev8ABC_dims24hipblaslt_initializationbPT_mmmmmEUlmE7_EvS5_mmT0_.has_indirect_call, 0
	.section	.AMDGPU.csdata,"",@progbits
; Kernel info:
; codeLenInByte = 836
; TotalNumSgprs: 12
; NumVgprs: 12
; ScratchSize: 0
; MemoryBound: 0
; FloatMode: 240
; IeeeMode: 1
; LDSByteSize: 0 bytes/workgroup (compile time only)
; SGPRBlocks: 0
; VGPRBlocks: 0
; NumSGPRsForWavesPerEU: 12
; NumVGPRsForWavesPerEU: 12
; NamedBarCnt: 0
; Occupancy: 16
; WaveLimiterHint : 0
; COMPUTE_PGM_RSRC2:SCRATCH_EN: 0
; COMPUTE_PGM_RSRC2:USER_SGPR: 2
; COMPUTE_PGM_RSRC2:TRAP_HANDLER: 0
; COMPUTE_PGM_RSRC2:TGID_X_EN: 1
; COMPUTE_PGM_RSRC2:TGID_Y_EN: 0
; COMPUTE_PGM_RSRC2:TGID_Z_EN: 0
; COMPUTE_PGM_RSRC2:TIDIG_COMP_CNT: 0
	.section	.text._Z11fill_kernelI17hipblaslt_f8_fnuzZ21hipblaslt_init_deviceIS0_Ev8ABC_dims24hipblaslt_initializationbPT_mmmmmEUlmE8_EvS5_mmT0_,"axG",@progbits,_Z11fill_kernelI17hipblaslt_f8_fnuzZ21hipblaslt_init_deviceIS0_Ev8ABC_dims24hipblaslt_initializationbPT_mmmmmEUlmE8_EvS5_mmT0_,comdat
	.protected	_Z11fill_kernelI17hipblaslt_f8_fnuzZ21hipblaslt_init_deviceIS0_Ev8ABC_dims24hipblaslt_initializationbPT_mmmmmEUlmE8_EvS5_mmT0_ ; -- Begin function _Z11fill_kernelI17hipblaslt_f8_fnuzZ21hipblaslt_init_deviceIS0_Ev8ABC_dims24hipblaslt_initializationbPT_mmmmmEUlmE8_EvS5_mmT0_
	.globl	_Z11fill_kernelI17hipblaslt_f8_fnuzZ21hipblaslt_init_deviceIS0_Ev8ABC_dims24hipblaslt_initializationbPT_mmmmmEUlmE8_EvS5_mmT0_
	.p2align	8
	.type	_Z11fill_kernelI17hipblaslt_f8_fnuzZ21hipblaslt_init_deviceIS0_Ev8ABC_dims24hipblaslt_initializationbPT_mmmmmEUlmE8_EvS5_mmT0_,@function
_Z11fill_kernelI17hipblaslt_f8_fnuzZ21hipblaslt_init_deviceIS0_Ev8ABC_dims24hipblaslt_initializationbPT_mmmmmEUlmE8_EvS5_mmT0_: ; @_Z11fill_kernelI17hipblaslt_f8_fnuzZ21hipblaslt_init_deviceIS0_Ev8ABC_dims24hipblaslt_initializationbPT_mmmmmEUlmE8_EvS5_mmT0_
; %bb.0:
	s_clause 0x1
	s_load_b32 s2, s[0:1], 0x2c
	s_load_b128 s[4:7], s[0:1], 0x0
	s_bfe_u32 s3, ttmp6, 0x4000c
	s_and_b32 s8, ttmp6, 15
	s_add_co_i32 s3, s3, 1
	s_getreg_b32 s9, hwreg(HW_REG_IB_STS2, 6, 4)
	s_mul_i32 s3, ttmp9, s3
	v_mov_b32_e32 v1, 0
	s_add_co_i32 s8, s8, s3
	s_wait_kmcnt 0x0
	s_and_b32 s2, s2, 0xffff
	s_cmp_eq_u32 s9, 0
	s_cselect_b32 s3, ttmp9, s8
	s_delay_alu instid0(SALU_CYCLE_1) | instskip(SKIP_1) | instid1(VALU_DEP_1)
	v_mad_u32 v0, s3, s2, v0
	s_mov_b32 s2, exec_lo
	v_cmpx_gt_u64_e64 s[6:7], v[0:1]
	s_cbranch_execz .LBB53_2
; %bb.1:
	s_load_b64 s[0:1], s[0:1], 0x10
	s_wait_kmcnt 0x0
	s_add_nc_u64 s[0:1], s[4:5], s[0:1]
	s_delay_alu instid0(SALU_CYCLE_1)
	v_add_nc_u64_e32 v[2:3], s[0:1], v[0:1]
	global_store_b8 v[2:3], v1, off
.LBB53_2:
	s_endpgm
	.section	.rodata,"a",@progbits
	.p2align	6, 0x0
	.amdhsa_kernel _Z11fill_kernelI17hipblaslt_f8_fnuzZ21hipblaslt_init_deviceIS0_Ev8ABC_dims24hipblaslt_initializationbPT_mmmmmEUlmE8_EvS5_mmT0_
		.amdhsa_group_segment_fixed_size 0
		.amdhsa_private_segment_fixed_size 0
		.amdhsa_kernarg_size 288
		.amdhsa_user_sgpr_count 2
		.amdhsa_user_sgpr_dispatch_ptr 0
		.amdhsa_user_sgpr_queue_ptr 0
		.amdhsa_user_sgpr_kernarg_segment_ptr 1
		.amdhsa_user_sgpr_dispatch_id 0
		.amdhsa_user_sgpr_kernarg_preload_length 0
		.amdhsa_user_sgpr_kernarg_preload_offset 0
		.amdhsa_user_sgpr_private_segment_size 0
		.amdhsa_wavefront_size32 1
		.amdhsa_uses_dynamic_stack 0
		.amdhsa_enable_private_segment 0
		.amdhsa_system_sgpr_workgroup_id_x 1
		.amdhsa_system_sgpr_workgroup_id_y 0
		.amdhsa_system_sgpr_workgroup_id_z 0
		.amdhsa_system_sgpr_workgroup_info 0
		.amdhsa_system_vgpr_workitem_id 0
		.amdhsa_next_free_vgpr 4
		.amdhsa_next_free_sgpr 10
		.amdhsa_named_barrier_count 0
		.amdhsa_reserve_vcc 0
		.amdhsa_float_round_mode_32 0
		.amdhsa_float_round_mode_16_64 0
		.amdhsa_float_denorm_mode_32 3
		.amdhsa_float_denorm_mode_16_64 3
		.amdhsa_fp16_overflow 0
		.amdhsa_memory_ordered 1
		.amdhsa_forward_progress 1
		.amdhsa_inst_pref_size 2
		.amdhsa_round_robin_scheduling 0
		.amdhsa_exception_fp_ieee_invalid_op 0
		.amdhsa_exception_fp_denorm_src 0
		.amdhsa_exception_fp_ieee_div_zero 0
		.amdhsa_exception_fp_ieee_overflow 0
		.amdhsa_exception_fp_ieee_underflow 0
		.amdhsa_exception_fp_ieee_inexact 0
		.amdhsa_exception_int_div_zero 0
	.end_amdhsa_kernel
	.section	.text._Z11fill_kernelI17hipblaslt_f8_fnuzZ21hipblaslt_init_deviceIS0_Ev8ABC_dims24hipblaslt_initializationbPT_mmmmmEUlmE8_EvS5_mmT0_,"axG",@progbits,_Z11fill_kernelI17hipblaslt_f8_fnuzZ21hipblaslt_init_deviceIS0_Ev8ABC_dims24hipblaslt_initializationbPT_mmmmmEUlmE8_EvS5_mmT0_,comdat
.Lfunc_end53:
	.size	_Z11fill_kernelI17hipblaslt_f8_fnuzZ21hipblaslt_init_deviceIS0_Ev8ABC_dims24hipblaslt_initializationbPT_mmmmmEUlmE8_EvS5_mmT0_, .Lfunc_end53-_Z11fill_kernelI17hipblaslt_f8_fnuzZ21hipblaslt_init_deviceIS0_Ev8ABC_dims24hipblaslt_initializationbPT_mmmmmEUlmE8_EvS5_mmT0_
                                        ; -- End function
	.set _Z11fill_kernelI17hipblaslt_f8_fnuzZ21hipblaslt_init_deviceIS0_Ev8ABC_dims24hipblaslt_initializationbPT_mmmmmEUlmE8_EvS5_mmT0_.num_vgpr, 4
	.set _Z11fill_kernelI17hipblaslt_f8_fnuzZ21hipblaslt_init_deviceIS0_Ev8ABC_dims24hipblaslt_initializationbPT_mmmmmEUlmE8_EvS5_mmT0_.num_agpr, 0
	.set _Z11fill_kernelI17hipblaslt_f8_fnuzZ21hipblaslt_init_deviceIS0_Ev8ABC_dims24hipblaslt_initializationbPT_mmmmmEUlmE8_EvS5_mmT0_.numbered_sgpr, 10
	.set _Z11fill_kernelI17hipblaslt_f8_fnuzZ21hipblaslt_init_deviceIS0_Ev8ABC_dims24hipblaslt_initializationbPT_mmmmmEUlmE8_EvS5_mmT0_.num_named_barrier, 0
	.set _Z11fill_kernelI17hipblaslt_f8_fnuzZ21hipblaslt_init_deviceIS0_Ev8ABC_dims24hipblaslt_initializationbPT_mmmmmEUlmE8_EvS5_mmT0_.private_seg_size, 0
	.set _Z11fill_kernelI17hipblaslt_f8_fnuzZ21hipblaslt_init_deviceIS0_Ev8ABC_dims24hipblaslt_initializationbPT_mmmmmEUlmE8_EvS5_mmT0_.uses_vcc, 0
	.set _Z11fill_kernelI17hipblaslt_f8_fnuzZ21hipblaslt_init_deviceIS0_Ev8ABC_dims24hipblaslt_initializationbPT_mmmmmEUlmE8_EvS5_mmT0_.uses_flat_scratch, 0
	.set _Z11fill_kernelI17hipblaslt_f8_fnuzZ21hipblaslt_init_deviceIS0_Ev8ABC_dims24hipblaslt_initializationbPT_mmmmmEUlmE8_EvS5_mmT0_.has_dyn_sized_stack, 0
	.set _Z11fill_kernelI17hipblaslt_f8_fnuzZ21hipblaslt_init_deviceIS0_Ev8ABC_dims24hipblaslt_initializationbPT_mmmmmEUlmE8_EvS5_mmT0_.has_recursion, 0
	.set _Z11fill_kernelI17hipblaslt_f8_fnuzZ21hipblaslt_init_deviceIS0_Ev8ABC_dims24hipblaslt_initializationbPT_mmmmmEUlmE8_EvS5_mmT0_.has_indirect_call, 0
	.section	.AMDGPU.csdata,"",@progbits
; Kernel info:
; codeLenInByte = 140
; TotalNumSgprs: 10
; NumVgprs: 4
; ScratchSize: 0
; MemoryBound: 0
; FloatMode: 240
; IeeeMode: 1
; LDSByteSize: 0 bytes/workgroup (compile time only)
; SGPRBlocks: 0
; VGPRBlocks: 0
; NumSGPRsForWavesPerEU: 10
; NumVGPRsForWavesPerEU: 4
; NamedBarCnt: 0
; Occupancy: 16
; WaveLimiterHint : 0
; COMPUTE_PGM_RSRC2:SCRATCH_EN: 0
; COMPUTE_PGM_RSRC2:USER_SGPR: 2
; COMPUTE_PGM_RSRC2:TRAP_HANDLER: 0
; COMPUTE_PGM_RSRC2:TGID_X_EN: 1
; COMPUTE_PGM_RSRC2:TGID_Y_EN: 0
; COMPUTE_PGM_RSRC2:TGID_Z_EN: 0
; COMPUTE_PGM_RSRC2:TIDIG_COMP_CNT: 0
	.section	.text._Z11fill_kernelI17hipblaslt_f8_fnuzZ21hipblaslt_init_deviceIS0_Ev8ABC_dims24hipblaslt_initializationbPT_mmmmmEUlmE9_EvS5_mmT0_,"axG",@progbits,_Z11fill_kernelI17hipblaslt_f8_fnuzZ21hipblaslt_init_deviceIS0_Ev8ABC_dims24hipblaslt_initializationbPT_mmmmmEUlmE9_EvS5_mmT0_,comdat
	.protected	_Z11fill_kernelI17hipblaslt_f8_fnuzZ21hipblaslt_init_deviceIS0_Ev8ABC_dims24hipblaslt_initializationbPT_mmmmmEUlmE9_EvS5_mmT0_ ; -- Begin function _Z11fill_kernelI17hipblaslt_f8_fnuzZ21hipblaslt_init_deviceIS0_Ev8ABC_dims24hipblaslt_initializationbPT_mmmmmEUlmE9_EvS5_mmT0_
	.globl	_Z11fill_kernelI17hipblaslt_f8_fnuzZ21hipblaslt_init_deviceIS0_Ev8ABC_dims24hipblaslt_initializationbPT_mmmmmEUlmE9_EvS5_mmT0_
	.p2align	8
	.type	_Z11fill_kernelI17hipblaslt_f8_fnuzZ21hipblaslt_init_deviceIS0_Ev8ABC_dims24hipblaslt_initializationbPT_mmmmmEUlmE9_EvS5_mmT0_,@function
_Z11fill_kernelI17hipblaslt_f8_fnuzZ21hipblaslt_init_deviceIS0_Ev8ABC_dims24hipblaslt_initializationbPT_mmmmmEUlmE9_EvS5_mmT0_: ; @_Z11fill_kernelI17hipblaslt_f8_fnuzZ21hipblaslt_init_deviceIS0_Ev8ABC_dims24hipblaslt_initializationbPT_mmmmmEUlmE9_EvS5_mmT0_
; %bb.0:
	s_clause 0x1
	s_load_b32 s2, s[0:1], 0x2c
	s_load_b128 s[4:7], s[0:1], 0x0
	s_bfe_u32 s3, ttmp6, 0x4000c
	s_and_b32 s8, ttmp6, 15
	s_add_co_i32 s3, s3, 1
	s_getreg_b32 s9, hwreg(HW_REG_IB_STS2, 6, 4)
	s_mul_i32 s3, ttmp9, s3
	v_mov_b32_e32 v1, 0
	s_add_co_i32 s8, s8, s3
	s_wait_kmcnt 0x0
	s_and_b32 s2, s2, 0xffff
	s_cmp_eq_u32 s9, 0
	s_cselect_b32 s3, ttmp9, s8
	s_delay_alu instid0(SALU_CYCLE_1) | instskip(SKIP_1) | instid1(VALU_DEP_1)
	v_mad_u32 v0, s3, s2, v0
	s_mov_b32 s2, exec_lo
	v_cmpx_gt_u64_e64 s[6:7], v[0:1]
	s_cbranch_execz .LBB54_18
; %bb.1:
	s_load_b96 s[0:2], s[0:1], 0x10
	s_wait_kmcnt 0x0
	v_add_nc_u64_e32 v[0:1], s[0:1], v[0:1]
	s_mov_b32 s0, 0xb90ffb1d
	s_delay_alu instid0(VALU_DEP_1) | instskip(NEXT) | instid1(VALU_DEP_1)
	v_add_nc_u32_e32 v2, s2, v0
	v_mad_u32 v3, v2, s0, 0xdc6d3ef
	s_mov_b32 s0, 0x6ab9d291
	s_delay_alu instid0(VALU_DEP_1) | instskip(SKIP_3) | instid1(VALU_DEP_2)
	v_lshrrev_b32_e32 v5, 2, v3
	v_mad_u32 v4, 0x10dcd, v2, 1
	v_mad_u32 v6, v2, s0, 0xdfb3c992
	s_mov_b32 s0, exec_lo
	v_dual_lshlrev_b32 v7, 4, v4 :: v_dual_bitop2_b32 v3, v5, v3 bitop3:0x14
	s_delay_alu instid0(VALU_DEP_1) | instskip(NEXT) | instid1(VALU_DEP_1)
	v_dual_lshlrev_b32 v5, 1, v3 :: v_dual_lshrrev_b32 v8, 2, v6
	v_xor_b32_e32 v6, v8, v6
	s_delay_alu instid0(VALU_DEP_2) | instskip(NEXT) | instid1(VALU_DEP_1)
	v_xor_b32_e32 v5, v7, v5
	v_xor3_b32 v3, v5, v4, v3
	s_delay_alu instid0(VALU_DEP_1) | instskip(NEXT) | instid1(VALU_DEP_1)
	v_dual_lshlrev_b32 v5, 4, v3 :: v_dual_lshlrev_b32 v4, 1, v6
	v_xor_b32_e32 v5, v4, v5
	v_xor_b32_e32 v4, 0x587c5, v2
	s_delay_alu instid0(VALU_DEP_2) | instskip(NEXT) | instid1(VALU_DEP_1)
	v_xor3_b32 v2, v5, v6, v3
                                        ; implicit-def: $vgpr6
                                        ; implicit-def: $vgpr5
	v_add3_u32 v2, v4, v2, 0xb0f8a
	s_delay_alu instid0(VALU_DEP_1) | instskip(NEXT) | instid1(VALU_DEP_1)
	v_cvt_f32_u32_e32 v2, v2
	v_mul_f32_e32 v2, 0x2f800000, v2
	s_delay_alu instid0(VALU_DEP_1) | instskip(NEXT) | instid1(VALU_DEP_1)
	v_mul_f32_e32 v2, 0x40c90fdb, v2
	v_cmpx_ngt_f32_e32 0x48000000, v2
	s_xor_b32 s2, exec_lo, s0
	s_cbranch_execz .LBB54_3
; %bb.2:
	s_mov_b32 s0, 0x7fffff
	v_mov_b32_e32 v7, 0
	v_and_or_b32 v6, v2, s0, 0x800000
	s_mov_b64 s[0:1], 0xfe5163ab
	v_lshrrev_b32_e32 v5, 23, v2
	s_delay_alu instid0(VALU_DEP_2) | instskip(NEXT) | instid1(VALU_DEP_1)
	v_mul_u64_e32 v[8:9], s[0:1], v[6:7]
	v_dual_mov_b32 v10, v9 :: v_dual_mov_b32 v11, v7
	v_dual_mov_b32 v13, v7 :: v_dual_mov_b32 v15, v7
	;; [unrolled: 1-line block ×3, first 2 shown]
	s_delay_alu instid0(VALU_DEP_3) | instskip(NEXT) | instid1(VALU_DEP_1)
	v_mad_nc_u64_u32 v[10:11], 0x3c439041, v6, v[10:11]
	v_mov_b32_e32 v12, v11
	s_delay_alu instid0(VALU_DEP_1) | instskip(NEXT) | instid1(VALU_DEP_1)
	v_mad_nc_u64_u32 v[12:13], 0xdb629599, v6, v[12:13]
	v_mov_b32_e32 v14, v13
	s_delay_alu instid0(VALU_DEP_1) | instskip(NEXT) | instid1(VALU_DEP_1)
	;; [unrolled: 3-line block ×3, first 2 shown]
	v_mad_nc_u64_u32 v[16:17], 0xfc2757d1, v6, v[16:17]
	v_dual_mov_b32 v19, v7 :: v_dual_mov_b32 v18, v17
	s_delay_alu instid0(VALU_DEP_1) | instskip(NEXT) | instid1(VALU_DEP_1)
	v_mad_nc_u64_u32 v[18:19], 0x4e441529, v6, v[18:19]
	v_dual_mov_b32 v20, v19 :: v_dual_add_nc_u32 v5, 0xffffff88, v5
	s_delay_alu instid0(VALU_DEP_1) | instskip(NEXT) | instid1(VALU_DEP_2)
	v_cmp_lt_u32_e32 vcc_lo, 63, v5
	v_mad_nc_u64_u32 v[6:7], 0xa2f9836e, v6, v[20:21]
	v_cndmask_b32_e64 v9, 0, 0xffffffc0, vcc_lo
	v_dual_cndmask_b32 v11, v18, v14 :: v_dual_cndmask_b32 v8, v12, v8
	s_delay_alu instid0(VALU_DEP_2) | instskip(NEXT) | instid1(VALU_DEP_1)
	v_add_nc_u32_e32 v5, v9, v5
	v_cmp_lt_u32_e64 s0, 31, v5
	v_dual_cndmask_b32 v6, v6, v16 :: v_dual_cndmask_b32 v7, v7, v18
	s_delay_alu instid0(VALU_DEP_2) | instskip(NEXT) | instid1(VALU_DEP_1)
	v_cndmask_b32_e64 v9, 0, 0xffffffe0, s0
	v_add_nc_u32_e32 v5, v9, v5
	s_delay_alu instid0(VALU_DEP_1) | instskip(NEXT) | instid1(VALU_DEP_1)
	v_cmp_lt_u32_e64 s1, 31, v5
	v_cndmask_b32_e64 v9, 0, 0xffffffe0, s1
	s_delay_alu instid0(VALU_DEP_1) | instskip(SKIP_2) | instid1(VALU_DEP_3)
	v_dual_cndmask_b32 v13, v16, v12, vcc_lo :: v_dual_add_nc_u32 v5, v9, v5
	v_cndmask_b32_e32 v9, v14, v10, vcc_lo
	v_dual_cndmask_b32 v10, v6, v11, s0 :: v_dual_cndmask_b32 v6, v7, v6, s0
	v_cndmask_b32_e64 v7, v11, v13, s0
	s_delay_alu instid0(VALU_DEP_4) | instskip(NEXT) | instid1(VALU_DEP_4)
	v_sub_nc_u32_e32 v11, 32, v5
	v_cndmask_b32_e64 v13, v13, v9, s0
	v_cmp_eq_u32_e32 vcc_lo, 0, v5
	v_cndmask_b32_e64 v6, v6, v10, s1
	s_delay_alu instid0(VALU_DEP_3) | instskip(NEXT) | instid1(VALU_DEP_1)
	v_dual_cndmask_b32 v10, v10, v7, s1 :: v_dual_cndmask_b32 v7, v7, v13, s1
	v_alignbit_b32 v14, v6, v10, v11
	s_delay_alu instid0(VALU_DEP_2) | instskip(NEXT) | instid1(VALU_DEP_2)
	v_alignbit_b32 v12, v10, v7, v11
	v_dual_cndmask_b32 v5, v14, v6, vcc_lo :: v_dual_cndmask_b32 v6, v9, v8, s0
	s_delay_alu instid0(VALU_DEP_1) | instskip(NEXT) | instid1(VALU_DEP_1)
	v_bfe_u32 v9, v5, 29, 1
	v_dual_cndmask_b32 v8, v12, v10, vcc_lo :: v_dual_sub_nc_u32 v12, 0, v9
	s_delay_alu instid0(VALU_DEP_1) | instskip(NEXT) | instid1(VALU_DEP_1)
	v_alignbit_b32 v10, v5, v8, 30
	v_dual_cndmask_b32 v6, v13, v6, s1 :: v_dual_bitop2_b32 v10, v10, v12 bitop3:0x14
	s_delay_alu instid0(VALU_DEP_1) | instskip(NEXT) | instid1(VALU_DEP_1)
	v_alignbit_b32 v11, v7, v6, v11
	v_cndmask_b32_e32 v7, v11, v7, vcc_lo
	s_delay_alu instid0(VALU_DEP_3) | instskip(NEXT) | instid1(VALU_DEP_2)
	v_clz_i32_u32_e32 v11, v10
	v_alignbit_b32 v6, v7, v6, 30
	s_delay_alu instid0(VALU_DEP_2) | instskip(NEXT) | instid1(VALU_DEP_2)
	v_min_u32_e32 v11, 32, v11
	v_xor_b32_e32 v6, v6, v12
	v_alignbit_b32 v8, v8, v7, 30
	s_delay_alu instid0(VALU_DEP_1) | instskip(SKIP_1) | instid1(VALU_DEP_1)
	v_dual_lshlrev_b32 v13, 23, v11 :: v_dual_bitop2_b32 v7, v8, v12 bitop3:0x14
	v_dual_sub_nc_u32 v8, 31, v11 :: v_dual_lshrrev_b32 v12, 29, v5
	v_alignbit_b32 v10, v10, v7, v8
	v_alignbit_b32 v6, v7, v6, v8
	s_delay_alu instid0(VALU_DEP_3) | instskip(NEXT) | instid1(VALU_DEP_2)
	v_lshlrev_b32_e32 v7, 31, v12
	v_alignbit_b32 v8, v10, v6, 9
	s_delay_alu instid0(VALU_DEP_2) | instskip(NEXT) | instid1(VALU_DEP_2)
	v_dual_lshrrev_b32 v10, 9, v10 :: v_dual_bitop2_b32 v12, 0.5, v7 bitop3:0x54
	v_clz_i32_u32_e32 v14, v8
	s_delay_alu instid0(VALU_DEP_2) | instskip(SKIP_1) | instid1(VALU_DEP_3)
	v_sub_nc_u32_e32 v12, v12, v13
	v_or_b32_e32 v7, 0x33000000, v7
	v_min_u32_e32 v13, 32, v14
	s_delay_alu instid0(VALU_DEP_1) | instskip(NEXT) | instid1(VALU_DEP_4)
	v_add_lshl_u32 v11, v13, v11, 23
	v_or_b32_e32 v10, v10, v12
	v_not_b32_e32 v12, v13
	s_delay_alu instid0(VALU_DEP_2) | instskip(NEXT) | instid1(VALU_DEP_2)
	v_dual_mul_f32 v14, 0x3fc90fda, v10 :: v_dual_sub_nc_u32 v7, v7, v11
	v_alignbit_b32 v6, v8, v6, v12
	s_delay_alu instid0(VALU_DEP_2) | instskip(NEXT) | instid1(VALU_DEP_2)
	v_fma_f32 v8, 0x3fc90fda, v10, -v14
	v_lshrrev_b32_e32 v6, 9, v6
	s_delay_alu instid0(VALU_DEP_2) | instskip(NEXT) | instid1(VALU_DEP_2)
	v_fmamk_f32 v8, v10, 0x33a22168, v8
	v_or_b32_e32 v6, v7, v6
	s_delay_alu instid0(VALU_DEP_1) | instskip(NEXT) | instid1(VALU_DEP_1)
	v_fmac_f32_e32 v8, 0x3fc90fda, v6
	v_dual_add_f32 v5, v14, v8 :: v_dual_lshrrev_b32 v6, 30, v5
	s_delay_alu instid0(VALU_DEP_1)
	v_add_nc_u32_e32 v6, v9, v6
.LBB54_3:
	s_and_not1_saveexec_b32 s0, s2
; %bb.4:
	v_mul_f32_e32 v5, 0x3f22f983, v2
	s_delay_alu instid0(VALU_DEP_1) | instskip(NEXT) | instid1(VALU_DEP_1)
	v_rndne_f32_e32 v6, v5
	v_fmamk_f32 v5, v6, 0xbfc90fda, v2
	s_delay_alu instid0(VALU_DEP_1) | instskip(NEXT) | instid1(VALU_DEP_1)
	v_fmamk_f32 v5, v6, 0xb3a22168, v5
	v_fmamk_f32 v5, v6, 0xa7c234c4, v5
	v_cvt_i32_f32_e32 v6, v6
; %bb.5:
	s_or_b32 exec_lo, exec_lo, s0
	v_add3_u32 v3, v4, v3, 0x587c5
	s_mov_b32 s0, 0xb94c1982
	s_mov_b32 s1, 0x37d75334
	s_delay_alu instid0(VALU_DEP_1) | instskip(NEXT) | instid1(VALU_DEP_1)
	v_cvt_f32_u32_e32 v3, v3
	v_mul_f32_e32 v3, 0x2f800000, v3
	s_delay_alu instid0(VALU_DEP_1) | instskip(SKIP_1) | instid1(VALU_DEP_1)
	v_cmp_ngt_f32_e32 vcc_lo, 0x2edbe6ff, v3
	v_cndmask_b32_e32 v3, 0x2edbe6ff, v3, vcc_lo
	v_cmp_gt_f32_e32 vcc_lo, 0x800000, v3
	v_cndmask_b32_e64 v4, 0, 32, vcc_lo
	v_cndmask_b32_e64 v7, 0, 0x41b17218, vcc_lo
	s_delay_alu instid0(VALU_DEP_2) | instskip(NEXT) | instid1(VALU_DEP_1)
	v_ldexp_f32 v3, v3, v4
	v_log_f32_e32 v3, v3
	v_nop
	s_delay_alu instid0(TRANS32_DEP_1) | instskip(SKIP_1) | instid1(VALU_DEP_2)
	v_mul_f32_e32 v4, 0x3f317217, v3
	v_cmp_gt_f32_e64 vcc_lo, 0x7f800000, |v3|
	v_fma_f32 v4, 0x3f317217, v3, -v4
	s_delay_alu instid0(VALU_DEP_1) | instskip(NEXT) | instid1(VALU_DEP_1)
	v_fmamk_f32 v4, v3, 0x3377d1cf, v4
	v_fmac_f32_e32 v4, 0x3f317217, v3
	s_delay_alu instid0(VALU_DEP_1) | instskip(NEXT) | instid1(VALU_DEP_1)
	v_cndmask_b32_e32 v3, v3, v4, vcc_lo
	v_dual_sub_f32 v3, v3, v7 :: v_dual_mul_f32 v7, v5, v5
	s_delay_alu instid0(VALU_DEP_1) | instskip(NEXT) | instid1(VALU_DEP_2)
	v_mul_f32_e32 v3, -2.0, v3
	v_fmaak_f32 v9, s0, v7, 0x3c0881c4
	v_fmaak_f32 v10, s1, v7, 0xbab64f3b
	s_delay_alu instid0(VALU_DEP_3) | instskip(SKIP_1) | instid1(VALU_DEP_2)
	v_mul_f32_e32 v4, 0x4f800000, v3
	v_cmp_gt_f32_e32 vcc_lo, 0xf800000, v3
	v_cndmask_b32_e32 v3, v3, v4, vcc_lo
	s_delay_alu instid0(VALU_DEP_1) | instskip(SKIP_1) | instid1(TRANS32_DEP_1)
	v_sqrt_f32_e32 v4, v3
	v_nop
	v_dual_add_nc_u32 v8, -1, v4 :: v_dual_add_nc_u32 v11, 1, v4
	s_delay_alu instid0(VALU_DEP_1) | instskip(NEXT) | instid1(VALU_DEP_1)
	v_dual_fma_f32 v12, -v8, v4, v3 :: v_dual_fma_f32 v13, -v11, v4, v3
	v_cmp_ge_f32_e64 s0, 0, v12
	s_delay_alu instid0(VALU_DEP_1) | instskip(NEXT) | instid1(VALU_DEP_3)
	v_cndmask_b32_e64 v4, v4, v8, s0
	v_cmp_lt_f32_e64 s0, 0, v13
	s_delay_alu instid0(VALU_DEP_1) | instskip(SKIP_1) | instid1(VALU_DEP_1)
	v_cndmask_b32_e64 v4, v4, v11, s0
	v_fmaak_f32 v9, v7, v9, 0xbe2aaa9d
	v_mul_f32_e32 v8, v7, v9
	s_delay_alu instid0(VALU_DEP_1) | instskip(NEXT) | instid1(VALU_DEP_4)
	v_fmac_f32_e32 v5, v5, v8
	v_mul_f32_e32 v8, 0x37800000, v4
	s_delay_alu instid0(VALU_DEP_1) | instskip(SKIP_1) | instid1(VALU_DEP_1)
	v_cndmask_b32_e32 v4, v4, v8, vcc_lo
	v_fmaak_f32 v10, v7, v10, 0x3d2aabf7
	v_fmaak_f32 v9, v7, v10, 0xbf000004
	v_dual_lshlrev_b32 v6, 30, v6 :: v_dual_bitop2_b32 v10, 1, v6 bitop3:0x40
	v_cmp_class_f32_e64 vcc_lo, v3, 0x260
	s_delay_alu instid0(VALU_DEP_3) | instskip(NEXT) | instid1(VALU_DEP_3)
	v_fma_f32 v7, v7, v9, 1.0
	v_cmp_eq_u32_e64 s0, 0, v10
	v_cndmask_b32_e32 v3, v4, v3, vcc_lo
	v_cmp_lg_f32_e32 vcc_lo, 0x7f800000, v2
	s_delay_alu instid0(VALU_DEP_3) | instskip(NEXT) | instid1(VALU_DEP_1)
	v_cndmask_b32_e64 v5, -v5, v7, s0
	v_bitop3_b32 v5, v6, v5, 0x80000000 bitop3:0x6c
	s_delay_alu instid0(VALU_DEP_1) | instskip(NEXT) | instid1(VALU_DEP_1)
	v_cndmask_b32_e32 v2, 0x7fc00000, v5, vcc_lo
	v_dual_mul_f32 v4, v3, v2 :: v_dual_mov_b32 v3, 0
	s_delay_alu instid0(VALU_DEP_1) | instskip(NEXT) | instid1(VALU_DEP_1)
	v_and_b32_e32 v2, 0x7f800000, v4
	v_cmp_ne_u64_e32 vcc_lo, 0x7f800000, v[2:3]
	v_mov_b32_e32 v2, 0x80
	s_and_saveexec_b32 s2, vcc_lo
	s_cbranch_execz .LBB54_17
; %bb.6:
	v_and_b32_e32 v2, 0x7fffffff, v4
	s_delay_alu instid0(VALU_DEP_1) | instskip(SKIP_1) | instid1(SALU_CYCLE_1)
	v_cmp_gt_u64_e32 vcc_lo, 0x43700001, v[2:3]
                                        ; implicit-def: $vgpr2
	s_and_saveexec_b32 s0, vcc_lo
	s_xor_b32 s3, exec_lo, s0
	s_cbranch_execz .LBB54_14
; %bb.7:
	v_mov_b32_e32 v2, 0
	s_mov_b32 s6, exec_lo
	v_cmpx_ne_u32_e32 0, v4
	s_cbranch_execz .LBB54_13
; %bb.8:
	v_bfe_u32 v5, v4, 23, 8
	v_and_b32_e32 v6, 0x7fffff, v4
	v_mov_b32_e32 v3, 0
	s_delay_alu instid0(VALU_DEP_3) | instskip(SKIP_2) | instid1(VALU_DEP_3)
	v_sub_nc_u32_e64 v2, 0x78, v5 clamp
	v_cmp_eq_u32_e32 vcc_lo, 0, v5
	v_add_nc_u32_e32 v5, 0xffffff89, v5
	v_cndmask_b32_e64 v12, v2, 0x77, vcc_lo
	v_or_b32_e32 v2, 0x800000, v6
	s_delay_alu instid0(VALU_DEP_1) | instskip(SKIP_1) | instid1(VALU_DEP_2)
	v_dual_cndmask_b32 v2, v2, v6 :: v_dual_add_nc_u32 v7, 20, v12
	v_add_nc_u32_e32 v10, 19, v12
	v_lshlrev_b64_e64 v[6:7], v7, -1
	s_delay_alu instid0(VALU_DEP_3) | instskip(NEXT) | instid1(VALU_DEP_3)
	v_lshrrev_b64 v[8:9], v12, v[2:3]
	v_lshlrev_b64_e64 v[10:11], v10, 1
	s_delay_alu instid0(VALU_DEP_3) | instskip(NEXT) | instid1(VALU_DEP_4)
	v_bfi_b32 v7, v7, 0, 0
	v_bfi_b32 v6, v6, 0, v2
	s_delay_alu instid0(VALU_DEP_4) | instskip(NEXT) | instid1(VALU_DEP_2)
	v_and_b32_e32 v2, 0x100000, v8
	v_cmp_eq_u64_e64 s0, v[6:7], v[10:11]
	s_delay_alu instid0(VALU_DEP_2) | instskip(SKIP_2) | instid1(VALU_DEP_1)
	v_cmp_eq_u64_e64 s1, 0, v[2:3]
	v_cndmask_b32_e64 v2, v5, 0xffffff8a, vcc_lo
	v_lshrrev_b32_e32 v5, 23, v8
	v_add3_u32 v6, v2, v12, v5
	s_and_b32 vcc_lo, s1, s0
	s_mov_b32 s0, exec_lo
	v_subrev_co_ci_u32_e64 v7, null, 0, v8, vcc_lo
                                        ; implicit-def: $vgpr5
	s_delay_alu instid0(VALU_DEP_1) | instskip(NEXT) | instid1(VALU_DEP_1)
	v_and_b32_e32 v2, 0xfffff, v7
	v_dual_add_nc_u32 v7, -1, v6 :: v_dual_add_nc_u32 v2, v2, v8
	s_delay_alu instid0(VALU_DEP_1)
	v_cmpx_ne_u32_e32 0, v7
	s_xor_b32 s0, exec_lo, s0
	s_cbranch_execz .LBB54_10
; %bb.9:
	s_delay_alu instid0(VALU_DEP_2) | instskip(SKIP_2) | instid1(VALU_DEP_2)
	v_and_b32_e32 v8, 0x1000000, v2
	v_mov_b32_e32 v9, v3
	v_bfe_u32 v5, v2, 24, 1
	v_cmp_eq_u64_e32 vcc_lo, 0, v[8:9]
	s_delay_alu instid0(VALU_DEP_2)
	v_lshrrev_b64 v[2:3], v5, v[2:3]
	v_cndmask_b32_e32 v5, v6, v7, vcc_lo
.LBB54_10:
	s_and_not1_saveexec_b32 s0, s0
; %bb.11:
	s_delay_alu instid0(VALU_DEP_2)
	v_bfe_u32 v5, v2, 23, 1
; %bb.12:
	s_or_b32 exec_lo, exec_lo, s0
	s_delay_alu instid0(VALU_DEP_3) | instskip(NEXT) | instid1(VALU_DEP_2)
	v_lshrrev_b64 v[2:3], 20, v[2:3]
	v_dual_lshrrev_b32 v4, 24, v4 :: v_dual_min_i32 v6, 15, v5
	v_cmp_gt_i32_e32 vcc_lo, 16, v5
	v_cmp_eq_u32_e64 s0, 0, v5
	s_delay_alu instid0(VALU_DEP_3) | instskip(SKIP_1) | instid1(VALU_DEP_2)
	v_and_b32_e32 v4, 0x80, v4
	v_dual_cndmask_b32 v3, 0, v3 :: v_dual_cndmask_b32 v2, 7, v2
	v_lshl_or_b32 v4, v6, 3, v4
	s_delay_alu instid0(VALU_DEP_2) | instskip(NEXT) | instid1(VALU_DEP_2)
	v_cmp_eq_u64_e32 vcc_lo, 0, v[2:3]
	v_and_or_b32 v2, v2, 7, v4
	s_and_b32 s0, s0, vcc_lo
	s_delay_alu instid0(VALU_DEP_1) | instid1(SALU_CYCLE_1)
	v_cndmask_b32_e64 v2, v2, 0, s0
.LBB54_13:
	s_or_b32 exec_lo, exec_lo, s6
                                        ; implicit-def: $vgpr4
.LBB54_14:
	s_and_not1_saveexec_b32 s0, s3
; %bb.15:
	v_lshrrev_b32_e32 v2, 24, v4
	s_delay_alu instid0(VALU_DEP_1)
	v_or_b32_e32 v2, 0x7f, v2
; %bb.16:
	s_or_b32 exec_lo, exec_lo, s0
.LBB54_17:
	s_delay_alu instid0(SALU_CYCLE_1)
	s_or_b32 exec_lo, exec_lo, s2
	v_add_nc_u64_e32 v[0:1], s[4:5], v[0:1]
	global_store_b8 v[0:1], v2, off
.LBB54_18:
	s_endpgm
	.section	.rodata,"a",@progbits
	.p2align	6, 0x0
	.amdhsa_kernel _Z11fill_kernelI17hipblaslt_f8_fnuzZ21hipblaslt_init_deviceIS0_Ev8ABC_dims24hipblaslt_initializationbPT_mmmmmEUlmE9_EvS5_mmT0_
		.amdhsa_group_segment_fixed_size 0
		.amdhsa_private_segment_fixed_size 0
		.amdhsa_kernarg_size 288
		.amdhsa_user_sgpr_count 2
		.amdhsa_user_sgpr_dispatch_ptr 0
		.amdhsa_user_sgpr_queue_ptr 0
		.amdhsa_user_sgpr_kernarg_segment_ptr 1
		.amdhsa_user_sgpr_dispatch_id 0
		.amdhsa_user_sgpr_kernarg_preload_length 0
		.amdhsa_user_sgpr_kernarg_preload_offset 0
		.amdhsa_user_sgpr_private_segment_size 0
		.amdhsa_wavefront_size32 1
		.amdhsa_uses_dynamic_stack 0
		.amdhsa_enable_private_segment 0
		.amdhsa_system_sgpr_workgroup_id_x 1
		.amdhsa_system_sgpr_workgroup_id_y 0
		.amdhsa_system_sgpr_workgroup_id_z 0
		.amdhsa_system_sgpr_workgroup_info 0
		.amdhsa_system_vgpr_workitem_id 0
		.amdhsa_next_free_vgpr 22
		.amdhsa_next_free_sgpr 10
		.amdhsa_named_barrier_count 0
		.amdhsa_reserve_vcc 1
		.amdhsa_float_round_mode_32 0
		.amdhsa_float_round_mode_16_64 0
		.amdhsa_float_denorm_mode_32 3
		.amdhsa_float_denorm_mode_16_64 3
		.amdhsa_fp16_overflow 0
		.amdhsa_memory_ordered 1
		.amdhsa_forward_progress 1
		.amdhsa_inst_pref_size 17
		.amdhsa_round_robin_scheduling 0
		.amdhsa_exception_fp_ieee_invalid_op 0
		.amdhsa_exception_fp_denorm_src 0
		.amdhsa_exception_fp_ieee_div_zero 0
		.amdhsa_exception_fp_ieee_overflow 0
		.amdhsa_exception_fp_ieee_underflow 0
		.amdhsa_exception_fp_ieee_inexact 0
		.amdhsa_exception_int_div_zero 0
	.end_amdhsa_kernel
	.section	.text._Z11fill_kernelI17hipblaslt_f8_fnuzZ21hipblaslt_init_deviceIS0_Ev8ABC_dims24hipblaslt_initializationbPT_mmmmmEUlmE9_EvS5_mmT0_,"axG",@progbits,_Z11fill_kernelI17hipblaslt_f8_fnuzZ21hipblaslt_init_deviceIS0_Ev8ABC_dims24hipblaslt_initializationbPT_mmmmmEUlmE9_EvS5_mmT0_,comdat
.Lfunc_end54:
	.size	_Z11fill_kernelI17hipblaslt_f8_fnuzZ21hipblaslt_init_deviceIS0_Ev8ABC_dims24hipblaslt_initializationbPT_mmmmmEUlmE9_EvS5_mmT0_, .Lfunc_end54-_Z11fill_kernelI17hipblaslt_f8_fnuzZ21hipblaslt_init_deviceIS0_Ev8ABC_dims24hipblaslt_initializationbPT_mmmmmEUlmE9_EvS5_mmT0_
                                        ; -- End function
	.set _Z11fill_kernelI17hipblaslt_f8_fnuzZ21hipblaslt_init_deviceIS0_Ev8ABC_dims24hipblaslt_initializationbPT_mmmmmEUlmE9_EvS5_mmT0_.num_vgpr, 22
	.set _Z11fill_kernelI17hipblaslt_f8_fnuzZ21hipblaslt_init_deviceIS0_Ev8ABC_dims24hipblaslt_initializationbPT_mmmmmEUlmE9_EvS5_mmT0_.num_agpr, 0
	.set _Z11fill_kernelI17hipblaslt_f8_fnuzZ21hipblaslt_init_deviceIS0_Ev8ABC_dims24hipblaslt_initializationbPT_mmmmmEUlmE9_EvS5_mmT0_.numbered_sgpr, 10
	.set _Z11fill_kernelI17hipblaslt_f8_fnuzZ21hipblaslt_init_deviceIS0_Ev8ABC_dims24hipblaslt_initializationbPT_mmmmmEUlmE9_EvS5_mmT0_.num_named_barrier, 0
	.set _Z11fill_kernelI17hipblaslt_f8_fnuzZ21hipblaslt_init_deviceIS0_Ev8ABC_dims24hipblaslt_initializationbPT_mmmmmEUlmE9_EvS5_mmT0_.private_seg_size, 0
	.set _Z11fill_kernelI17hipblaslt_f8_fnuzZ21hipblaslt_init_deviceIS0_Ev8ABC_dims24hipblaslt_initializationbPT_mmmmmEUlmE9_EvS5_mmT0_.uses_vcc, 1
	.set _Z11fill_kernelI17hipblaslt_f8_fnuzZ21hipblaslt_init_deviceIS0_Ev8ABC_dims24hipblaslt_initializationbPT_mmmmmEUlmE9_EvS5_mmT0_.uses_flat_scratch, 0
	.set _Z11fill_kernelI17hipblaslt_f8_fnuzZ21hipblaslt_init_deviceIS0_Ev8ABC_dims24hipblaslt_initializationbPT_mmmmmEUlmE9_EvS5_mmT0_.has_dyn_sized_stack, 0
	.set _Z11fill_kernelI17hipblaslt_f8_fnuzZ21hipblaslt_init_deviceIS0_Ev8ABC_dims24hipblaslt_initializationbPT_mmmmmEUlmE9_EvS5_mmT0_.has_recursion, 0
	.set _Z11fill_kernelI17hipblaslt_f8_fnuzZ21hipblaslt_init_deviceIS0_Ev8ABC_dims24hipblaslt_initializationbPT_mmmmmEUlmE9_EvS5_mmT0_.has_indirect_call, 0
	.section	.AMDGPU.csdata,"",@progbits
; Kernel info:
; codeLenInByte = 2120
; TotalNumSgprs: 12
; NumVgprs: 22
; ScratchSize: 0
; MemoryBound: 0
; FloatMode: 240
; IeeeMode: 1
; LDSByteSize: 0 bytes/workgroup (compile time only)
; SGPRBlocks: 0
; VGPRBlocks: 1
; NumSGPRsForWavesPerEU: 12
; NumVGPRsForWavesPerEU: 22
; NamedBarCnt: 0
; Occupancy: 16
; WaveLimiterHint : 0
; COMPUTE_PGM_RSRC2:SCRATCH_EN: 0
; COMPUTE_PGM_RSRC2:USER_SGPR: 2
; COMPUTE_PGM_RSRC2:TRAP_HANDLER: 0
; COMPUTE_PGM_RSRC2:TGID_X_EN: 1
; COMPUTE_PGM_RSRC2:TGID_Y_EN: 0
; COMPUTE_PGM_RSRC2:TGID_Z_EN: 0
; COMPUTE_PGM_RSRC2:TIDIG_COMP_CNT: 0
	.section	.text._Z11fill_kernelI18hipblaslt_bf8_fnuzZ21hipblaslt_init_deviceIS0_Ev8ABC_dims24hipblaslt_initializationbPT_mmmmmEUlmE_EvS5_mmT0_,"axG",@progbits,_Z11fill_kernelI18hipblaslt_bf8_fnuzZ21hipblaslt_init_deviceIS0_Ev8ABC_dims24hipblaslt_initializationbPT_mmmmmEUlmE_EvS5_mmT0_,comdat
	.protected	_Z11fill_kernelI18hipblaslt_bf8_fnuzZ21hipblaslt_init_deviceIS0_Ev8ABC_dims24hipblaslt_initializationbPT_mmmmmEUlmE_EvS5_mmT0_ ; -- Begin function _Z11fill_kernelI18hipblaslt_bf8_fnuzZ21hipblaslt_init_deviceIS0_Ev8ABC_dims24hipblaslt_initializationbPT_mmmmmEUlmE_EvS5_mmT0_
	.globl	_Z11fill_kernelI18hipblaslt_bf8_fnuzZ21hipblaslt_init_deviceIS0_Ev8ABC_dims24hipblaslt_initializationbPT_mmmmmEUlmE_EvS5_mmT0_
	.p2align	8
	.type	_Z11fill_kernelI18hipblaslt_bf8_fnuzZ21hipblaslt_init_deviceIS0_Ev8ABC_dims24hipblaslt_initializationbPT_mmmmmEUlmE_EvS5_mmT0_,@function
_Z11fill_kernelI18hipblaslt_bf8_fnuzZ21hipblaslt_init_deviceIS0_Ev8ABC_dims24hipblaslt_initializationbPT_mmmmmEUlmE_EvS5_mmT0_: ; @_Z11fill_kernelI18hipblaslt_bf8_fnuzZ21hipblaslt_init_deviceIS0_Ev8ABC_dims24hipblaslt_initializationbPT_mmmmmEUlmE_EvS5_mmT0_
; %bb.0:
	s_clause 0x1
	s_load_b32 s2, s[0:1], 0x8c
	s_load_b128 s[4:7], s[0:1], 0x0
	s_bfe_u32 s3, ttmp6, 0x4000c
	s_and_b32 s8, ttmp6, 15
	s_add_co_i32 s3, s3, 1
	s_getreg_b32 s9, hwreg(HW_REG_IB_STS2, 6, 4)
	s_mul_i32 s3, ttmp9, s3
	v_mov_b32_e32 v1, 0
	s_add_co_i32 s8, s8, s3
	s_wait_kmcnt 0x0
	s_and_b32 s2, s2, 0xffff
	s_cmp_eq_u32 s9, 0
	s_cselect_b32 s3, ttmp9, s8
	s_delay_alu instid0(SALU_CYCLE_1) | instskip(SKIP_1) | instid1(VALU_DEP_1)
	v_mad_u32 v0, s3, s2, v0
	s_mov_b32 s2, exec_lo
	v_cmpx_gt_u64_e64 s[6:7], v[0:1]
	s_cbranch_execz .LBB55_2
; %bb.1:
	s_load_b64 s[2:3], s[0:1], 0x10
	s_wait_kmcnt 0x0
	v_add_nc_u64_e32 v[0:1], s[2:3], v[0:1]
	s_mov_b32 s2, 0x19660d
	s_delay_alu instid0(VALU_DEP_1) | instid1(SALU_CYCLE_1)
	v_mad_nc_u64_u32 v[2:3], v0, s2, 0x3c6ef35f
	s_delay_alu instid0(VALU_DEP_1) | instskip(SKIP_1) | instid1(VALU_DEP_2)
	v_mad_u32 v3, 0x19660d, v1, v3
	v_add_nc_u64_e32 v[0:1], s[4:5], v[0:1]
	v_lshlrev_b64_e32 v[4:5], 13, v[2:3]
	s_delay_alu instid0(VALU_DEP_1) | instskip(NEXT) | instid1(VALU_DEP_2)
	v_xor_b32_e32 v3, v5, v3
	v_xor_b32_e32 v2, v4, v2
	s_delay_alu instid0(VALU_DEP_1) | instskip(NEXT) | instid1(VALU_DEP_1)
	v_lshrrev_b64 v[4:5], 17, v[2:3]
	v_xor_b32_e32 v3, v5, v3
	s_delay_alu instid0(VALU_DEP_2) | instskip(NEXT) | instid1(VALU_DEP_1)
	v_xor_b32_e32 v2, v4, v2
	v_lshlrev_b64_e32 v[4:5], 5, v[2:3]
	s_delay_alu instid0(VALU_DEP_1) | instskip(NEXT) | instid1(VALU_DEP_2)
	v_xor_b32_e32 v3, v5, v3
	v_xor_b32_e32 v2, v4, v2
	s_delay_alu instid0(VALU_DEP_1) | instskip(NEXT) | instid1(VALU_DEP_1)
	v_lshlrev_b64_e32 v[4:5], 13, v[2:3]
	v_xor_b32_e32 v3, v5, v3
	s_delay_alu instid0(VALU_DEP_2) | instskip(NEXT) | instid1(VALU_DEP_1)
	v_xor_b32_e32 v2, v4, v2
	v_lshrrev_b64 v[4:5], 17, v[2:3]
	s_delay_alu instid0(VALU_DEP_1) | instskip(NEXT) | instid1(VALU_DEP_2)
	v_xor_b32_e32 v3, v5, v3
	v_xor_b32_e32 v2, v4, v2
	s_delay_alu instid0(VALU_DEP_1) | instskip(NEXT) | instid1(VALU_DEP_1)
	v_lshlrev_b64_e32 v[4:5], 5, v[2:3]
	v_xor_b32_e32 v3, v5, v3
	s_delay_alu instid0(VALU_DEP_2) | instskip(NEXT) | instid1(VALU_DEP_1)
	v_xor_b32_e32 v2, v4, v2
	v_lshlrev_b64_e32 v[4:5], 13, v[2:3]
	s_delay_alu instid0(VALU_DEP_1) | instskip(NEXT) | instid1(VALU_DEP_2)
	v_xor_b32_e32 v3, v5, v3
	v_xor_b32_e32 v2, v4, v2
	s_delay_alu instid0(VALU_DEP_1) | instskip(NEXT) | instid1(VALU_DEP_1)
	v_alignbit_b32 v3, v3, v2, 17
	v_xor_b32_e32 v2, v3, v2
	s_delay_alu instid0(VALU_DEP_1) | instskip(NEXT) | instid1(VALU_DEP_1)
	v_lshlrev_b32_e32 v3, 5, v2
	v_xor_b32_e32 v2, v3, v2
	s_delay_alu instid0(VALU_DEP_1) | instskip(NEXT) | instid1(VALU_DEP_1)
	v_mul_hi_u32 v3, 0x51eb851f, v2
	v_lshrrev_b32_e32 v3, 5, v3
	s_delay_alu instid0(VALU_DEP_1) | instskip(NEXT) | instid1(VALU_DEP_1)
	v_mul_lo_u32 v3, 0x64, v3
	v_sub_nc_u32_e32 v2, v2, v3
	global_load_u8 v2, v2, s[0:1] offset:24
	s_wait_loadcnt 0x0
	global_store_b8 v[0:1], v2, off
.LBB55_2:
	s_endpgm
	.section	.rodata,"a",@progbits
	.p2align	6, 0x0
	.amdhsa_kernel _Z11fill_kernelI18hipblaslt_bf8_fnuzZ21hipblaslt_init_deviceIS0_Ev8ABC_dims24hipblaslt_initializationbPT_mmmmmEUlmE_EvS5_mmT0_
		.amdhsa_group_segment_fixed_size 0
		.amdhsa_private_segment_fixed_size 0
		.amdhsa_kernarg_size 384
		.amdhsa_user_sgpr_count 2
		.amdhsa_user_sgpr_dispatch_ptr 0
		.amdhsa_user_sgpr_queue_ptr 0
		.amdhsa_user_sgpr_kernarg_segment_ptr 1
		.amdhsa_user_sgpr_dispatch_id 0
		.amdhsa_user_sgpr_kernarg_preload_length 0
		.amdhsa_user_sgpr_kernarg_preload_offset 0
		.amdhsa_user_sgpr_private_segment_size 0
		.amdhsa_wavefront_size32 1
		.amdhsa_uses_dynamic_stack 0
		.amdhsa_enable_private_segment 0
		.amdhsa_system_sgpr_workgroup_id_x 1
		.amdhsa_system_sgpr_workgroup_id_y 0
		.amdhsa_system_sgpr_workgroup_id_z 0
		.amdhsa_system_sgpr_workgroup_info 0
		.amdhsa_system_vgpr_workitem_id 0
		.amdhsa_next_free_vgpr 6
		.amdhsa_next_free_sgpr 10
		.amdhsa_named_barrier_count 0
		.amdhsa_reserve_vcc 0
		.amdhsa_float_round_mode_32 0
		.amdhsa_float_round_mode_16_64 0
		.amdhsa_float_denorm_mode_32 3
		.amdhsa_float_denorm_mode_16_64 3
		.amdhsa_fp16_overflow 0
		.amdhsa_memory_ordered 1
		.amdhsa_forward_progress 1
		.amdhsa_inst_pref_size 4
		.amdhsa_round_robin_scheduling 0
		.amdhsa_exception_fp_ieee_invalid_op 0
		.amdhsa_exception_fp_denorm_src 0
		.amdhsa_exception_fp_ieee_div_zero 0
		.amdhsa_exception_fp_ieee_overflow 0
		.amdhsa_exception_fp_ieee_underflow 0
		.amdhsa_exception_fp_ieee_inexact 0
		.amdhsa_exception_int_div_zero 0
	.end_amdhsa_kernel
	.section	.text._Z11fill_kernelI18hipblaslt_bf8_fnuzZ21hipblaslt_init_deviceIS0_Ev8ABC_dims24hipblaslt_initializationbPT_mmmmmEUlmE_EvS5_mmT0_,"axG",@progbits,_Z11fill_kernelI18hipblaslt_bf8_fnuzZ21hipblaslt_init_deviceIS0_Ev8ABC_dims24hipblaslt_initializationbPT_mmmmmEUlmE_EvS5_mmT0_,comdat
.Lfunc_end55:
	.size	_Z11fill_kernelI18hipblaslt_bf8_fnuzZ21hipblaslt_init_deviceIS0_Ev8ABC_dims24hipblaslt_initializationbPT_mmmmmEUlmE_EvS5_mmT0_, .Lfunc_end55-_Z11fill_kernelI18hipblaslt_bf8_fnuzZ21hipblaslt_init_deviceIS0_Ev8ABC_dims24hipblaslt_initializationbPT_mmmmmEUlmE_EvS5_mmT0_
                                        ; -- End function
	.set _Z11fill_kernelI18hipblaslt_bf8_fnuzZ21hipblaslt_init_deviceIS0_Ev8ABC_dims24hipblaslt_initializationbPT_mmmmmEUlmE_EvS5_mmT0_.num_vgpr, 6
	.set _Z11fill_kernelI18hipblaslt_bf8_fnuzZ21hipblaslt_init_deviceIS0_Ev8ABC_dims24hipblaslt_initializationbPT_mmmmmEUlmE_EvS5_mmT0_.num_agpr, 0
	.set _Z11fill_kernelI18hipblaslt_bf8_fnuzZ21hipblaslt_init_deviceIS0_Ev8ABC_dims24hipblaslt_initializationbPT_mmmmmEUlmE_EvS5_mmT0_.numbered_sgpr, 10
	.set _Z11fill_kernelI18hipblaslt_bf8_fnuzZ21hipblaslt_init_deviceIS0_Ev8ABC_dims24hipblaslt_initializationbPT_mmmmmEUlmE_EvS5_mmT0_.num_named_barrier, 0
	.set _Z11fill_kernelI18hipblaslt_bf8_fnuzZ21hipblaslt_init_deviceIS0_Ev8ABC_dims24hipblaslt_initializationbPT_mmmmmEUlmE_EvS5_mmT0_.private_seg_size, 0
	.set _Z11fill_kernelI18hipblaslt_bf8_fnuzZ21hipblaslt_init_deviceIS0_Ev8ABC_dims24hipblaslt_initializationbPT_mmmmmEUlmE_EvS5_mmT0_.uses_vcc, 0
	.set _Z11fill_kernelI18hipblaslt_bf8_fnuzZ21hipblaslt_init_deviceIS0_Ev8ABC_dims24hipblaslt_initializationbPT_mmmmmEUlmE_EvS5_mmT0_.uses_flat_scratch, 0
	.set _Z11fill_kernelI18hipblaslt_bf8_fnuzZ21hipblaslt_init_deviceIS0_Ev8ABC_dims24hipblaslt_initializationbPT_mmmmmEUlmE_EvS5_mmT0_.has_dyn_sized_stack, 0
	.set _Z11fill_kernelI18hipblaslt_bf8_fnuzZ21hipblaslt_init_deviceIS0_Ev8ABC_dims24hipblaslt_initializationbPT_mmmmmEUlmE_EvS5_mmT0_.has_recursion, 0
	.set _Z11fill_kernelI18hipblaslt_bf8_fnuzZ21hipblaslt_init_deviceIS0_Ev8ABC_dims24hipblaslt_initializationbPT_mmmmmEUlmE_EvS5_mmT0_.has_indirect_call, 0
	.section	.AMDGPU.csdata,"",@progbits
; Kernel info:
; codeLenInByte = 392
; TotalNumSgprs: 10
; NumVgprs: 6
; ScratchSize: 0
; MemoryBound: 0
; FloatMode: 240
; IeeeMode: 1
; LDSByteSize: 0 bytes/workgroup (compile time only)
; SGPRBlocks: 0
; VGPRBlocks: 0
; NumSGPRsForWavesPerEU: 10
; NumVGPRsForWavesPerEU: 6
; NamedBarCnt: 0
; Occupancy: 16
; WaveLimiterHint : 0
; COMPUTE_PGM_RSRC2:SCRATCH_EN: 0
; COMPUTE_PGM_RSRC2:USER_SGPR: 2
; COMPUTE_PGM_RSRC2:TRAP_HANDLER: 0
; COMPUTE_PGM_RSRC2:TGID_X_EN: 1
; COMPUTE_PGM_RSRC2:TGID_Y_EN: 0
; COMPUTE_PGM_RSRC2:TGID_Z_EN: 0
; COMPUTE_PGM_RSRC2:TIDIG_COMP_CNT: 0
	.section	.text._Z11fill_kernelI18hipblaslt_bf8_fnuzZ21hipblaslt_init_deviceIS0_Ev8ABC_dims24hipblaslt_initializationbPT_mmmmmEUlmE0_EvS5_mmT0_,"axG",@progbits,_Z11fill_kernelI18hipblaslt_bf8_fnuzZ21hipblaslt_init_deviceIS0_Ev8ABC_dims24hipblaslt_initializationbPT_mmmmmEUlmE0_EvS5_mmT0_,comdat
	.protected	_Z11fill_kernelI18hipblaslt_bf8_fnuzZ21hipblaslt_init_deviceIS0_Ev8ABC_dims24hipblaslt_initializationbPT_mmmmmEUlmE0_EvS5_mmT0_ ; -- Begin function _Z11fill_kernelI18hipblaslt_bf8_fnuzZ21hipblaslt_init_deviceIS0_Ev8ABC_dims24hipblaslt_initializationbPT_mmmmmEUlmE0_EvS5_mmT0_
	.globl	_Z11fill_kernelI18hipblaslt_bf8_fnuzZ21hipblaslt_init_deviceIS0_Ev8ABC_dims24hipblaslt_initializationbPT_mmmmmEUlmE0_EvS5_mmT0_
	.p2align	8
	.type	_Z11fill_kernelI18hipblaslt_bf8_fnuzZ21hipblaslt_init_deviceIS0_Ev8ABC_dims24hipblaslt_initializationbPT_mmmmmEUlmE0_EvS5_mmT0_,@function
_Z11fill_kernelI18hipblaslt_bf8_fnuzZ21hipblaslt_init_deviceIS0_Ev8ABC_dims24hipblaslt_initializationbPT_mmmmmEUlmE0_EvS5_mmT0_: ; @_Z11fill_kernelI18hipblaslt_bf8_fnuzZ21hipblaslt_init_deviceIS0_Ev8ABC_dims24hipblaslt_initializationbPT_mmmmmEUlmE0_EvS5_mmT0_
; %bb.0:
	s_clause 0x1
	s_load_b32 s2, s[0:1], 0x2c
	s_load_b128 s[4:7], s[0:1], 0x0
	s_bfe_u32 s3, ttmp6, 0x4000c
	s_and_b32 s8, ttmp6, 15
	s_add_co_i32 s3, s3, 1
	s_getreg_b32 s9, hwreg(HW_REG_IB_STS2, 6, 4)
	s_mul_i32 s3, ttmp9, s3
	v_mov_b32_e32 v3, 0
	s_add_co_i32 s8, s8, s3
	s_wait_kmcnt 0x0
	s_and_b32 s2, s2, 0xffff
	s_cmp_eq_u32 s9, 0
	s_cselect_b32 s3, ttmp9, s8
	s_delay_alu instid0(SALU_CYCLE_1) | instskip(SKIP_1) | instid1(VALU_DEP_1)
	v_mad_u32 v2, s3, s2, v0
	s_mov_b32 s2, exec_lo
	v_cmpx_gt_u64_e64 s[6:7], v[2:3]
	s_cbranch_execz .LBB56_10
; %bb.1:
	s_load_b64 s[0:1], s[0:1], 0x10
	s_wait_kmcnt 0x0
	v_add_nc_u64_e32 v[0:1], s[0:1], v[2:3]
	s_mov_b32 s0, 0x19660d
	s_delay_alu instid0(VALU_DEP_1) | instid1(SALU_CYCLE_1)
	v_mad_nc_u64_u32 v[4:5], v0, s0, 0x3c6ef35f
	s_delay_alu instid0(VALU_DEP_1) | instskip(NEXT) | instid1(VALU_DEP_1)
	v_mad_u32 v5, 0x19660d, v1, v5
	v_lshlrev_b64_e32 v[6:7], 13, v[4:5]
	s_delay_alu instid0(VALU_DEP_1) | instskip(NEXT) | instid1(VALU_DEP_2)
	v_xor_b32_e32 v5, v7, v5
	v_xor_b32_e32 v4, v6, v4
	s_delay_alu instid0(VALU_DEP_1) | instskip(NEXT) | instid1(VALU_DEP_1)
	v_lshrrev_b64 v[6:7], 17, v[4:5]
	v_xor_b32_e32 v5, v7, v5
	s_delay_alu instid0(VALU_DEP_2) | instskip(NEXT) | instid1(VALU_DEP_1)
	v_xor_b32_e32 v4, v6, v4
	v_lshlrev_b64_e32 v[6:7], 5, v[4:5]
	s_delay_alu instid0(VALU_DEP_1) | instskip(NEXT) | instid1(VALU_DEP_2)
	v_xor_b32_e32 v5, v7, v5
	v_xor_b32_e32 v4, v6, v4
	s_delay_alu instid0(VALU_DEP_1) | instskip(NEXT) | instid1(VALU_DEP_1)
	v_lshlrev_b64_e32 v[6:7], 13, v[4:5]
	v_xor_b32_e32 v5, v7, v5
	s_delay_alu instid0(VALU_DEP_2) | instskip(NEXT) | instid1(VALU_DEP_1)
	v_xor_b32_e32 v4, v6, v4
	v_lshrrev_b64 v[6:7], 17, v[4:5]
	s_delay_alu instid0(VALU_DEP_1) | instskip(NEXT) | instid1(VALU_DEP_2)
	v_xor_b32_e32 v5, v7, v5
	v_xor_b32_e32 v4, v6, v4
	s_delay_alu instid0(VALU_DEP_1) | instskip(NEXT) | instid1(VALU_DEP_1)
	v_lshlrev_b64_e32 v[6:7], 5, v[4:5]
	v_xor_b32_e32 v5, v7, v5
	s_delay_alu instid0(VALU_DEP_2) | instskip(NEXT) | instid1(VALU_DEP_1)
	v_xor_b32_e32 v4, v6, v4
	v_lshlrev_b64_e32 v[6:7], 13, v[4:5]
	s_delay_alu instid0(VALU_DEP_1) | instskip(NEXT) | instid1(VALU_DEP_2)
	v_xor_b32_e32 v2, v7, v5
	v_xor_b32_e32 v4, v6, v4
	s_delay_alu instid0(VALU_DEP_1) | instskip(NEXT) | instid1(VALU_DEP_1)
	v_alignbit_b32 v2, v2, v4, 17
	v_xor_b32_e32 v2, v2, v4
	s_delay_alu instid0(VALU_DEP_1) | instskip(NEXT) | instid1(VALU_DEP_1)
	v_lshlrev_b32_e32 v4, 5, v2
	v_xor_b32_e32 v2, v4, v2
	s_delay_alu instid0(VALU_DEP_1) | instskip(NEXT) | instid1(VALU_DEP_1)
	v_mul_hi_u32 v4, 0xcccccccd, v2
	v_lshrrev_b32_e32 v4, 3, v4
	s_delay_alu instid0(VALU_DEP_1) | instskip(NEXT) | instid1(VALU_DEP_1)
	v_mul_lo_u32 v4, v4, 10
	v_sub_nc_u32_e32 v2, v2, v4
	s_delay_alu instid0(VALU_DEP_1) | instskip(NEXT) | instid1(VALU_DEP_1)
	v_add_nc_u32_e32 v2, 1, v2
	v_cvt_f32_u32_e32 v4, v2
	s_delay_alu instid0(VALU_DEP_1) | instskip(NEXT) | instid1(VALU_DEP_1)
	v_and_b32_e32 v2, 0x7f800000, v4
	v_cmp_ne_u64_e32 vcc_lo, 0x7f800000, v[2:3]
	v_mov_b32_e32 v2, 0x80
	s_and_saveexec_b32 s2, vcc_lo
	s_cbranch_execz .LBB56_9
; %bb.2:
	v_mov_b32_e32 v2, 0x7f
	s_mov_b32 s3, exec_lo
	v_cmpx_gt_u32_e32 0x47600001, v4
	s_cbranch_execz .LBB56_8
; %bb.3:
	v_lshrrev_b32_e32 v10, 23, v4
	v_and_b32_e32 v5, 0x7fffff, v4
	v_cmp_gt_u32_e32 vcc_lo, 0x800000, v4
	s_delay_alu instid0(VALU_DEP_3) | instskip(NEXT) | instid1(VALU_DEP_1)
	v_sub_nc_u32_e64 v2, 0x70, v10 clamp
	v_cndmask_b32_e64 v11, v2, 0x6f, vcc_lo
	s_delay_alu instid0(VALU_DEP_4) | instskip(NEXT) | instid1(VALU_DEP_2)
	v_or_b32_e32 v2, 0x800000, v5
	v_dual_mov_b32 v3, 0 :: v_dual_add_nc_u32 v4, 21, v11
	s_delay_alu instid0(VALU_DEP_2) | instskip(NEXT) | instid1(VALU_DEP_2)
	v_cndmask_b32_e32 v2, v2, v5, vcc_lo
	v_lshlrev_b64_e64 v[4:5], v4, -1
	s_delay_alu instid0(VALU_DEP_2) | instskip(SKIP_2) | instid1(VALU_DEP_2)
	v_lshrrev_b64 v[8:9], v11, v[2:3]
	v_add_nc_u32_e32 v6, 20, v11
	v_add_nc_u32_e32 v9, 0xffffff91, v10
	v_lshlrev_b64_e64 v[6:7], v6, 1
	v_bfi_b32 v5, v5, 0, 0
	v_bfi_b32 v4, v4, 0, v2
	v_and_b32_e32 v2, 0x200000, v8
	s_delay_alu instid0(VALU_DEP_2) | instskip(NEXT) | instid1(VALU_DEP_2)
	v_cmp_eq_u64_e64 s0, v[4:5], v[6:7]
	v_cmp_eq_u64_e64 s1, 0, v[2:3]
	v_cndmask_b32_e64 v2, v9, 0xffffff92, vcc_lo
	v_lshrrev_b32_e32 v4, 23, v8
	s_delay_alu instid0(VALU_DEP_1) | instskip(SKIP_3) | instid1(VALU_DEP_1)
	v_add3_u32 v5, v2, v11, v4
	s_and_b32 vcc_lo, s1, s0
	s_mov_b32 s0, exec_lo
	v_subrev_co_ci_u32_e64 v6, null, 0, v8, vcc_lo
                                        ; implicit-def: $vgpr4
	v_and_b32_e32 v2, 0x1fffff, v6
	s_delay_alu instid0(VALU_DEP_1) | instskip(NEXT) | instid1(VALU_DEP_1)
	v_dual_add_nc_u32 v6, -1, v5 :: v_dual_add_nc_u32 v2, v2, v8
	v_cmpx_ne_u32_e32 0, v6
	s_xor_b32 s0, exec_lo, s0
	s_cbranch_execz .LBB56_5
; %bb.4:
	s_delay_alu instid0(VALU_DEP_2) | instskip(SKIP_2) | instid1(VALU_DEP_2)
	v_and_b32_e32 v8, 0x1000000, v2
	v_mov_b32_e32 v9, v3
	v_bfe_u32 v4, v2, 24, 1
	v_cmp_eq_u64_e32 vcc_lo, 0, v[8:9]
	s_delay_alu instid0(VALU_DEP_2)
	v_lshrrev_b64 v[2:3], v4, v[2:3]
	v_cndmask_b32_e32 v4, v5, v6, vcc_lo
.LBB56_5:
	s_and_not1_saveexec_b32 s0, s0
; %bb.6:
	s_delay_alu instid0(VALU_DEP_2)
	v_bfe_u32 v4, v2, 23, 1
; %bb.7:
	s_or_b32 exec_lo, exec_lo, s0
	s_delay_alu instid0(VALU_DEP_3) | instskip(NEXT) | instid1(VALU_DEP_2)
	v_lshrrev_b64 v[2:3], 21, v[2:3]
	v_cmp_gt_i32_e32 vcc_lo, 32, v4
	v_min_i32_e32 v5, 31, v4
	v_cmp_eq_u32_e64 s0, 0, v4
	s_delay_alu instid0(VALU_DEP_4) | instskip(NEXT) | instid1(VALU_DEP_3)
	v_dual_cndmask_b32 v3, 0, v3 :: v_dual_cndmask_b32 v2, 3, v2
	v_lshlrev_b32_e32 v5, 2, v5
	s_delay_alu instid0(VALU_DEP_2) | instskip(NEXT) | instid1(VALU_DEP_2)
	v_cmp_eq_u64_e32 vcc_lo, 0, v[2:3]
	v_and_or_b32 v2, v2, 3, v5
	s_and_b32 s0, s0, vcc_lo
	s_delay_alu instid0(VALU_DEP_1) | instid1(SALU_CYCLE_1)
	v_cndmask_b32_e64 v2, v2, 0, s0
.LBB56_8:
	s_or_b32 exec_lo, exec_lo, s3
.LBB56_9:
	s_delay_alu instid0(SALU_CYCLE_1)
	s_or_b32 exec_lo, exec_lo, s2
	v_add_nc_u64_e32 v[0:1], s[4:5], v[0:1]
	global_store_b8 v[0:1], v2, off
.LBB56_10:
	s_endpgm
	.section	.rodata,"a",@progbits
	.p2align	6, 0x0
	.amdhsa_kernel _Z11fill_kernelI18hipblaslt_bf8_fnuzZ21hipblaslt_init_deviceIS0_Ev8ABC_dims24hipblaslt_initializationbPT_mmmmmEUlmE0_EvS5_mmT0_
		.amdhsa_group_segment_fixed_size 0
		.amdhsa_private_segment_fixed_size 0
		.amdhsa_kernarg_size 288
		.amdhsa_user_sgpr_count 2
		.amdhsa_user_sgpr_dispatch_ptr 0
		.amdhsa_user_sgpr_queue_ptr 0
		.amdhsa_user_sgpr_kernarg_segment_ptr 1
		.amdhsa_user_sgpr_dispatch_id 0
		.amdhsa_user_sgpr_kernarg_preload_length 0
		.amdhsa_user_sgpr_kernarg_preload_offset 0
		.amdhsa_user_sgpr_private_segment_size 0
		.amdhsa_wavefront_size32 1
		.amdhsa_uses_dynamic_stack 0
		.amdhsa_enable_private_segment 0
		.amdhsa_system_sgpr_workgroup_id_x 1
		.amdhsa_system_sgpr_workgroup_id_y 0
		.amdhsa_system_sgpr_workgroup_id_z 0
		.amdhsa_system_sgpr_workgroup_info 0
		.amdhsa_system_vgpr_workitem_id 0
		.amdhsa_next_free_vgpr 12
		.amdhsa_next_free_sgpr 10
		.amdhsa_named_barrier_count 0
		.amdhsa_reserve_vcc 1
		.amdhsa_float_round_mode_32 0
		.amdhsa_float_round_mode_16_64 0
		.amdhsa_float_denorm_mode_32 3
		.amdhsa_float_denorm_mode_16_64 3
		.amdhsa_fp16_overflow 0
		.amdhsa_memory_ordered 1
		.amdhsa_forward_progress 1
		.amdhsa_inst_pref_size 7
		.amdhsa_round_robin_scheduling 0
		.amdhsa_exception_fp_ieee_invalid_op 0
		.amdhsa_exception_fp_denorm_src 0
		.amdhsa_exception_fp_ieee_div_zero 0
		.amdhsa_exception_fp_ieee_overflow 0
		.amdhsa_exception_fp_ieee_underflow 0
		.amdhsa_exception_fp_ieee_inexact 0
		.amdhsa_exception_int_div_zero 0
	.end_amdhsa_kernel
	.section	.text._Z11fill_kernelI18hipblaslt_bf8_fnuzZ21hipblaslt_init_deviceIS0_Ev8ABC_dims24hipblaslt_initializationbPT_mmmmmEUlmE0_EvS5_mmT0_,"axG",@progbits,_Z11fill_kernelI18hipblaslt_bf8_fnuzZ21hipblaslt_init_deviceIS0_Ev8ABC_dims24hipblaslt_initializationbPT_mmmmmEUlmE0_EvS5_mmT0_,comdat
.Lfunc_end56:
	.size	_Z11fill_kernelI18hipblaslt_bf8_fnuzZ21hipblaslt_init_deviceIS0_Ev8ABC_dims24hipblaslt_initializationbPT_mmmmmEUlmE0_EvS5_mmT0_, .Lfunc_end56-_Z11fill_kernelI18hipblaslt_bf8_fnuzZ21hipblaslt_init_deviceIS0_Ev8ABC_dims24hipblaslt_initializationbPT_mmmmmEUlmE0_EvS5_mmT0_
                                        ; -- End function
	.set _Z11fill_kernelI18hipblaslt_bf8_fnuzZ21hipblaslt_init_deviceIS0_Ev8ABC_dims24hipblaslt_initializationbPT_mmmmmEUlmE0_EvS5_mmT0_.num_vgpr, 12
	.set _Z11fill_kernelI18hipblaslt_bf8_fnuzZ21hipblaslt_init_deviceIS0_Ev8ABC_dims24hipblaslt_initializationbPT_mmmmmEUlmE0_EvS5_mmT0_.num_agpr, 0
	.set _Z11fill_kernelI18hipblaslt_bf8_fnuzZ21hipblaslt_init_deviceIS0_Ev8ABC_dims24hipblaslt_initializationbPT_mmmmmEUlmE0_EvS5_mmT0_.numbered_sgpr, 10
	.set _Z11fill_kernelI18hipblaslt_bf8_fnuzZ21hipblaslt_init_deviceIS0_Ev8ABC_dims24hipblaslt_initializationbPT_mmmmmEUlmE0_EvS5_mmT0_.num_named_barrier, 0
	.set _Z11fill_kernelI18hipblaslt_bf8_fnuzZ21hipblaslt_init_deviceIS0_Ev8ABC_dims24hipblaslt_initializationbPT_mmmmmEUlmE0_EvS5_mmT0_.private_seg_size, 0
	.set _Z11fill_kernelI18hipblaslt_bf8_fnuzZ21hipblaslt_init_deviceIS0_Ev8ABC_dims24hipblaslt_initializationbPT_mmmmmEUlmE0_EvS5_mmT0_.uses_vcc, 1
	.set _Z11fill_kernelI18hipblaslt_bf8_fnuzZ21hipblaslt_init_deviceIS0_Ev8ABC_dims24hipblaslt_initializationbPT_mmmmmEUlmE0_EvS5_mmT0_.uses_flat_scratch, 0
	.set _Z11fill_kernelI18hipblaslt_bf8_fnuzZ21hipblaslt_init_deviceIS0_Ev8ABC_dims24hipblaslt_initializationbPT_mmmmmEUlmE0_EvS5_mmT0_.has_dyn_sized_stack, 0
	.set _Z11fill_kernelI18hipblaslt_bf8_fnuzZ21hipblaslt_init_deviceIS0_Ev8ABC_dims24hipblaslt_initializationbPT_mmmmmEUlmE0_EvS5_mmT0_.has_recursion, 0
	.set _Z11fill_kernelI18hipblaslt_bf8_fnuzZ21hipblaslt_init_deviceIS0_Ev8ABC_dims24hipblaslt_initializationbPT_mmmmmEUlmE0_EvS5_mmT0_.has_indirect_call, 0
	.section	.AMDGPU.csdata,"",@progbits
; Kernel info:
; codeLenInByte = 836
; TotalNumSgprs: 12
; NumVgprs: 12
; ScratchSize: 0
; MemoryBound: 0
; FloatMode: 240
; IeeeMode: 1
; LDSByteSize: 0 bytes/workgroup (compile time only)
; SGPRBlocks: 0
; VGPRBlocks: 0
; NumSGPRsForWavesPerEU: 12
; NumVGPRsForWavesPerEU: 12
; NamedBarCnt: 0
; Occupancy: 16
; WaveLimiterHint : 0
; COMPUTE_PGM_RSRC2:SCRATCH_EN: 0
; COMPUTE_PGM_RSRC2:USER_SGPR: 2
; COMPUTE_PGM_RSRC2:TRAP_HANDLER: 0
; COMPUTE_PGM_RSRC2:TGID_X_EN: 1
; COMPUTE_PGM_RSRC2:TGID_Y_EN: 0
; COMPUTE_PGM_RSRC2:TGID_Z_EN: 0
; COMPUTE_PGM_RSRC2:TIDIG_COMP_CNT: 0
	.section	.text._Z11fill_kernelI18hipblaslt_bf8_fnuzZ21hipblaslt_init_deviceIS0_Ev8ABC_dims24hipblaslt_initializationbPT_mmmmmEUlmE1_EvS5_mmT0_,"axG",@progbits,_Z11fill_kernelI18hipblaslt_bf8_fnuzZ21hipblaslt_init_deviceIS0_Ev8ABC_dims24hipblaslt_initializationbPT_mmmmmEUlmE1_EvS5_mmT0_,comdat
	.protected	_Z11fill_kernelI18hipblaslt_bf8_fnuzZ21hipblaslt_init_deviceIS0_Ev8ABC_dims24hipblaslt_initializationbPT_mmmmmEUlmE1_EvS5_mmT0_ ; -- Begin function _Z11fill_kernelI18hipblaslt_bf8_fnuzZ21hipblaslt_init_deviceIS0_Ev8ABC_dims24hipblaslt_initializationbPT_mmmmmEUlmE1_EvS5_mmT0_
	.globl	_Z11fill_kernelI18hipblaslt_bf8_fnuzZ21hipblaslt_init_deviceIS0_Ev8ABC_dims24hipblaslt_initializationbPT_mmmmmEUlmE1_EvS5_mmT0_
	.p2align	8
	.type	_Z11fill_kernelI18hipblaslt_bf8_fnuzZ21hipblaslt_init_deviceIS0_Ev8ABC_dims24hipblaslt_initializationbPT_mmmmmEUlmE1_EvS5_mmT0_,@function
_Z11fill_kernelI18hipblaslt_bf8_fnuzZ21hipblaslt_init_deviceIS0_Ev8ABC_dims24hipblaslt_initializationbPT_mmmmmEUlmE1_EvS5_mmT0_: ; @_Z11fill_kernelI18hipblaslt_bf8_fnuzZ21hipblaslt_init_deviceIS0_Ev8ABC_dims24hipblaslt_initializationbPT_mmmmmEUlmE1_EvS5_mmT0_
; %bb.0:
	s_load_b32 s2, s[0:1], 0x34
	s_bfe_u32 s12, ttmp6, 0x4000c
	s_load_b256 s[4:11], s[0:1], 0x0
	s_add_co_i32 s12, s12, 1
	s_and_b32 s3, ttmp6, 15
	s_mul_i32 s12, ttmp9, s12
	s_getreg_b32 s13, hwreg(HW_REG_IB_STS2, 6, 4)
	s_add_co_i32 s3, s3, s12
	v_mov_b32_e32 v3, 0
	s_wait_kmcnt 0x0
	s_and_b32 s2, s2, 0xffff
	s_cmp_eq_u32 s13, 0
	s_cselect_b32 s3, ttmp9, s3
	s_delay_alu instid0(SALU_CYCLE_1) | instskip(SKIP_1) | instid1(VALU_DEP_1)
	v_mad_u32 v2, s3, s2, v0
	s_mov_b32 s2, exec_lo
	v_cmpx_gt_u64_e64 s[6:7], v[2:3]
	s_cbranch_execz .LBB57_18
; %bb.1:
	v_add_nc_u64_e32 v[0:1], s[8:9], v[2:3]
	s_mov_b32 s2, 0x19660d
	v_mov_b32_e32 v8, 0x80
	s_mov_b32 s6, exec_lo
	s_delay_alu instid0(VALU_DEP_2) | instskip(SKIP_1) | instid1(VALU_DEP_1)
	v_mad_nc_u64_u32 v[4:5], v0, s2, 0x3c6ef35f
	s_load_b64 s[2:3], s[0:1], 0x20
	v_mad_u32 v5, 0x19660d, v1, v5
	s_delay_alu instid0(VALU_DEP_1) | instskip(NEXT) | instid1(VALU_DEP_1)
	v_lshlrev_b64_e32 v[6:7], 13, v[4:5]
	v_xor_b32_e32 v5, v7, v5
	s_delay_alu instid0(VALU_DEP_2) | instskip(NEXT) | instid1(VALU_DEP_1)
	v_xor_b32_e32 v4, v6, v4
	v_lshrrev_b64 v[6:7], 17, v[4:5]
	s_delay_alu instid0(VALU_DEP_1) | instskip(NEXT) | instid1(VALU_DEP_2)
	v_xor_b32_e32 v5, v7, v5
	v_xor_b32_e32 v4, v6, v4
	s_delay_alu instid0(VALU_DEP_1) | instskip(NEXT) | instid1(VALU_DEP_1)
	v_lshlrev_b64_e32 v[6:7], 5, v[4:5]
	v_xor_b32_e32 v5, v7, v5
	s_delay_alu instid0(VALU_DEP_2) | instskip(NEXT) | instid1(VALU_DEP_1)
	v_xor_b32_e32 v4, v6, v4
	v_lshlrev_b64_e32 v[6:7], 13, v[4:5]
	s_delay_alu instid0(VALU_DEP_1) | instskip(NEXT) | instid1(VALU_DEP_2)
	v_xor_b32_e32 v5, v7, v5
	v_xor_b32_e32 v4, v6, v4
	s_delay_alu instid0(VALU_DEP_1) | instskip(NEXT) | instid1(VALU_DEP_1)
	v_lshrrev_b64 v[6:7], 17, v[4:5]
	v_xor_b32_e32 v5, v7, v5
	s_delay_alu instid0(VALU_DEP_2) | instskip(NEXT) | instid1(VALU_DEP_1)
	v_xor_b32_e32 v4, v6, v4
	v_lshlrev_b64_e32 v[6:7], 5, v[4:5]
	s_delay_alu instid0(VALU_DEP_1) | instskip(NEXT) | instid1(VALU_DEP_2)
	v_xor_b32_e32 v5, v7, v5
	v_xor_b32_e32 v4, v6, v4
	s_delay_alu instid0(VALU_DEP_1) | instskip(NEXT) | instid1(VALU_DEP_1)
	v_lshlrev_b64_e32 v[6:7], 13, v[4:5]
	v_xor_b32_e32 v2, v7, v5
	s_delay_alu instid0(VALU_DEP_2) | instskip(NEXT) | instid1(VALU_DEP_1)
	v_xor_b32_e32 v4, v6, v4
	v_alignbit_b32 v2, v2, v4, 17
	s_delay_alu instid0(VALU_DEP_1) | instskip(NEXT) | instid1(VALU_DEP_1)
	v_xor_b32_e32 v2, v2, v4
	v_lshlrev_b32_e32 v4, 5, v2
	s_delay_alu instid0(VALU_DEP_1) | instskip(NEXT) | instid1(VALU_DEP_1)
	v_xor_b32_e32 v2, v4, v2
	v_mul_hi_u32 v4, 0xcccccccd, v2
	s_delay_alu instid0(VALU_DEP_1) | instskip(NEXT) | instid1(VALU_DEP_1)
	v_lshrrev_b32_e32 v4, 3, v4
	v_mul_lo_u32 v4, v4, 10
	s_delay_alu instid0(VALU_DEP_1) | instskip(NEXT) | instid1(VALU_DEP_1)
	v_sub_nc_u32_e32 v2, v2, v4
	v_add_nc_u32_e32 v2, 1, v2
	s_delay_alu instid0(VALU_DEP_1) | instskip(NEXT) | instid1(VALU_DEP_1)
	v_cvt_f32_u32_e32 v4, v2
	v_and_b32_e32 v2, 0x7f800000, v4
	s_delay_alu instid0(VALU_DEP_1)
	v_cmpx_ne_u64_e32 0x7f800000, v[2:3]
	s_cbranch_execz .LBB57_9
; %bb.2:
	v_mov_b32_e32 v8, 0x7f
	s_mov_b32 s7, exec_lo
	v_cmpx_gt_u32_e32 0x47600001, v4
	s_cbranch_execz .LBB57_8
; %bb.3:
	v_lshrrev_b32_e32 v10, 23, v4
	v_and_b32_e32 v5, 0x7fffff, v4
	v_cmp_gt_u32_e32 vcc_lo, 0x800000, v4
	s_delay_alu instid0(VALU_DEP_3) | instskip(NEXT) | instid1(VALU_DEP_1)
	v_sub_nc_u32_e64 v2, 0x70, v10 clamp
	v_cndmask_b32_e64 v11, v2, 0x6f, vcc_lo
	s_delay_alu instid0(VALU_DEP_4) | instskip(NEXT) | instid1(VALU_DEP_2)
	v_or_b32_e32 v2, 0x800000, v5
	v_dual_mov_b32 v3, 0 :: v_dual_add_nc_u32 v4, 21, v11
	s_delay_alu instid0(VALU_DEP_2) | instskip(NEXT) | instid1(VALU_DEP_2)
	v_cndmask_b32_e32 v2, v2, v5, vcc_lo
	v_lshlrev_b64_e64 v[4:5], v4, -1
	s_delay_alu instid0(VALU_DEP_2) | instskip(SKIP_2) | instid1(VALU_DEP_2)
	v_lshrrev_b64 v[8:9], v11, v[2:3]
	v_add_nc_u32_e32 v6, 20, v11
	v_add_nc_u32_e32 v9, 0xffffff91, v10
	v_lshlrev_b64_e64 v[6:7], v6, 1
	v_bfi_b32 v5, v5, 0, 0
	v_bfi_b32 v4, v4, 0, v2
	v_and_b32_e32 v2, 0x200000, v8
	s_wait_xcnt 0x0
	s_delay_alu instid0(VALU_DEP_2) | instskip(NEXT) | instid1(VALU_DEP_2)
	v_cmp_eq_u64_e64 s0, v[4:5], v[6:7]
	v_cmp_eq_u64_e64 s1, 0, v[2:3]
	v_cndmask_b32_e64 v2, v9, 0xffffff92, vcc_lo
	v_lshrrev_b32_e32 v4, 23, v8
	s_delay_alu instid0(VALU_DEP_1) | instskip(SKIP_3) | instid1(VALU_DEP_1)
	v_add3_u32 v5, v2, v11, v4
	s_and_b32 vcc_lo, s1, s0
	s_mov_b32 s0, exec_lo
	v_subrev_co_ci_u32_e64 v6, null, 0, v8, vcc_lo
                                        ; implicit-def: $vgpr4
	v_and_b32_e32 v2, 0x1fffff, v6
	s_delay_alu instid0(VALU_DEP_1) | instskip(NEXT) | instid1(VALU_DEP_1)
	v_dual_add_nc_u32 v6, -1, v5 :: v_dual_add_nc_u32 v2, v2, v8
	v_cmpx_ne_u32_e32 0, v6
	s_xor_b32 s0, exec_lo, s0
	s_cbranch_execz .LBB57_5
; %bb.4:
	s_delay_alu instid0(VALU_DEP_2) | instskip(SKIP_2) | instid1(VALU_DEP_2)
	v_and_b32_e32 v8, 0x1000000, v2
	v_mov_b32_e32 v9, v3
	v_bfe_u32 v4, v2, 24, 1
	v_cmp_eq_u64_e32 vcc_lo, 0, v[8:9]
	s_delay_alu instid0(VALU_DEP_2)
	v_lshrrev_b64 v[2:3], v4, v[2:3]
	v_cndmask_b32_e32 v4, v5, v6, vcc_lo
.LBB57_5:
	s_and_not1_saveexec_b32 s0, s0
; %bb.6:
	s_delay_alu instid0(VALU_DEP_2)
	v_bfe_u32 v4, v2, 23, 1
; %bb.7:
	s_or_b32 exec_lo, exec_lo, s0
	s_delay_alu instid0(VALU_DEP_3) | instskip(NEXT) | instid1(VALU_DEP_2)
	v_lshrrev_b64 v[2:3], 21, v[2:3]
	v_cmp_gt_i32_e32 vcc_lo, 32, v4
	v_min_i32_e32 v5, 31, v4
	v_cmp_eq_u32_e64 s0, 0, v4
	s_delay_alu instid0(VALU_DEP_4) | instskip(NEXT) | instid1(VALU_DEP_3)
	v_dual_cndmask_b32 v3, 0, v3 :: v_dual_cndmask_b32 v2, 3, v2
	v_lshlrev_b32_e32 v5, 2, v5
	s_delay_alu instid0(VALU_DEP_2) | instskip(NEXT) | instid1(VALU_DEP_2)
	v_cmp_eq_u64_e32 vcc_lo, 0, v[2:3]
	v_and_or_b32 v2, v2, 3, v5
	s_and_b32 s0, s0, vcc_lo
	s_delay_alu instid0(VALU_DEP_1) | instid1(SALU_CYCLE_1)
	v_cndmask_b32_e64 v8, v2, 0, s0
.LBB57_8:
	s_or_b32 exec_lo, exec_lo, s7
.LBB57_9:
	s_delay_alu instid0(SALU_CYCLE_1) | instskip(SKIP_3) | instid1(VALU_DEP_1)
	s_or_b32 exec_lo, exec_lo, s6
	v_dual_mov_b32 v4, 0 :: v_dual_bitop2_b32 v5, s11, v1 bitop3:0x54
                                        ; implicit-def: $vgpr2_vgpr3
	s_wait_xcnt 0x0
	s_mov_b32 s0, exec_lo
	v_cmpx_ne_u64_e32 0, v[4:5]
	s_xor_b32 s1, exec_lo, s0
	s_cbranch_execz .LBB57_11
; %bb.10:
	s_cvt_f32_u32 s0, s10
	s_cvt_f32_u32 s6, s11
	s_sub_nc_u64 s[8:9], 0, s[10:11]
	s_mov_b32 s15, 0
	v_dual_mov_b32 v2, v0 :: v_dual_mov_b32 v3, v4
	s_fmamk_f32 s0, s6, 0x4f800000, s0
	v_dual_mov_b32 v6, v1 :: v_dual_mov_b32 v7, v4
	v_dual_mov_b32 v13, v4 :: v_dual_mov_b32 v5, v4
	s_delay_alu instid0(SALU_CYCLE_1) | instskip(NEXT) | instid1(TRANS32_DEP_1)
	v_s_rcp_f32 s0, s0
	s_mul_f32 s0, s0, 0x5f7ffffc
	s_delay_alu instid0(SALU_CYCLE_3) | instskip(NEXT) | instid1(SALU_CYCLE_3)
	s_mul_f32 s6, s0, 0x2f800000
	s_trunc_f32 s6, s6
	s_delay_alu instid0(SALU_CYCLE_3) | instskip(SKIP_1) | instid1(SALU_CYCLE_2)
	s_fmamk_f32 s0, s6, 0xcf800000, s0
	s_cvt_u32_f32 s7, s6
	s_cvt_u32_f32 s6, s0
	s_delay_alu instid0(SALU_CYCLE_3) | instskip(NEXT) | instid1(SALU_CYCLE_1)
	s_mul_u64 s[12:13], s[8:9], s[6:7]
	s_mul_hi_u32 s17, s6, s13
	s_mul_i32 s16, s6, s13
	s_mul_hi_u32 s14, s6, s12
	s_mul_i32 s18, s7, s12
	s_add_nc_u64 s[16:17], s[14:15], s[16:17]
	s_mul_hi_u32 s0, s7, s12
	s_mul_hi_u32 s19, s7, s13
	s_mul_i32 s12, s7, s13
	s_add_co_u32 s13, s16, s18
	s_add_co_ci_u32 s14, s17, s0
	s_add_co_ci_u32 s13, s19, 0
	s_delay_alu instid0(SALU_CYCLE_1) | instskip(NEXT) | instid1(SALU_CYCLE_1)
	s_add_nc_u64 s[12:13], s[14:15], s[12:13]
	s_add_co_u32 s6, s6, s12
	s_cselect_b32 s0, -1, 0
	s_delay_alu instid0(SALU_CYCLE_1) | instskip(SKIP_1) | instid1(SALU_CYCLE_1)
	s_cmp_lg_u32 s0, 0
	s_add_co_ci_u32 s7, s7, s13
	s_mul_u64 s[8:9], s[8:9], s[6:7]
	s_delay_alu instid0(SALU_CYCLE_1)
	s_mul_hi_u32 s13, s6, s9
	s_mul_i32 s12, s6, s9
	s_mul_hi_u32 s14, s6, s8
	s_mul_i32 s16, s7, s8
	s_add_nc_u64 s[12:13], s[14:15], s[12:13]
	s_mul_hi_u32 s0, s7, s8
	s_mul_hi_u32 s17, s7, s9
	s_mul_i32 s8, s7, s9
	s_add_co_u32 s9, s12, s16
	s_add_co_ci_u32 s14, s13, s0
	s_add_co_ci_u32 s9, s17, 0
	s_delay_alu instid0(SALU_CYCLE_1) | instskip(NEXT) | instid1(SALU_CYCLE_1)
	s_add_nc_u64 s[8:9], s[14:15], s[8:9]
	s_add_co_u32 s0, s6, s8
	s_cselect_b32 s6, -1, 0
	v_nop
	v_mul_hi_u32 v12, v0, s0
	s_cmp_lg_u32 s6, 0
	s_add_co_ci_u32 s14, s7, s9
	s_mov_b64 s[6:7], 0xffffffff
	v_mul_u64_e32 v[2:3], s[14:15], v[2:3]
	s_and_b64 s[6:7], s[0:1], s[6:7]
	s_delay_alu instid0(SALU_CYCLE_1) | instskip(SKIP_1) | instid1(VALU_DEP_3)
	v_mul_u64_e32 v[10:11], s[6:7], v[6:7]
	v_mul_u64_e32 v[6:7], s[14:15], v[6:7]
	v_add_nc_u64_e32 v[2:3], v[12:13], v[2:3]
	s_delay_alu instid0(VALU_DEP_1) | instskip(NEXT) | instid1(VALU_DEP_2)
	v_add_co_u32 v2, vcc_lo, v2, v10
	v_add_co_ci_u32_e32 v4, vcc_lo, v3, v11, vcc_lo
	s_delay_alu instid0(VALU_DEP_4) | instskip(NEXT) | instid1(VALU_DEP_1)
	v_add_co_ci_u32_e32 v7, vcc_lo, 0, v7, vcc_lo
	v_add_nc_u64_e32 v[2:3], v[4:5], v[6:7]
	s_delay_alu instid0(VALU_DEP_1) | instskip(NEXT) | instid1(VALU_DEP_1)
	v_mul_u64_e32 v[2:3], s[10:11], v[2:3]
	v_sub_nc_u32_e32 v4, v1, v3
	s_delay_alu instid0(VALU_DEP_2) | instskip(NEXT) | instid1(VALU_DEP_1)
	v_sub_co_u32 v2, vcc_lo, v0, v2
	v_sub_co_ci_u32_e64 v3, null, v1, v3, vcc_lo
	s_delay_alu instid0(VALU_DEP_3) | instskip(NEXT) | instid1(VALU_DEP_3)
	v_subrev_co_ci_u32_e64 v4, null, s11, v4, vcc_lo
	v_sub_co_u32 v5, vcc_lo, v2, s10
	v_cmp_le_u32_e64 s0, s10, v2
	s_delay_alu instid0(VALU_DEP_3) | instskip(SKIP_1) | instid1(VALU_DEP_3)
	v_subrev_co_ci_u32_e64 v6, null, 0, v4, vcc_lo
	v_subrev_co_ci_u32_e64 v4, null, s11, v4, vcc_lo
	v_cndmask_b32_e64 v7, 0, -1, s0
	v_cmp_le_u32_e64 s0, s10, v5
	v_cmp_le_u32_e32 vcc_lo, s11, v3
	s_delay_alu instid0(VALU_DEP_2) | instskip(SKIP_3) | instid1(VALU_DEP_3)
	v_cndmask_b32_e64 v9, 0, -1, s0
	v_cmp_le_u32_e64 s0, s11, v6
	v_cndmask_b32_e64 v11, 0, -1, vcc_lo
	v_cmp_eq_u32_e32 vcc_lo, s11, v6
	v_cndmask_b32_e64 v10, 0, -1, s0
	v_cmp_eq_u32_e64 s0, s11, v3
	s_delay_alu instid0(VALU_DEP_2) | instskip(SKIP_1) | instid1(VALU_DEP_1)
	v_cndmask_b32_e32 v9, v10, v9, vcc_lo
	v_sub_co_u32 v10, vcc_lo, v5, s10
	v_subrev_co_ci_u32_e64 v4, null, 0, v4, vcc_lo
	s_delay_alu instid0(VALU_DEP_3) | instskip(NEXT) | instid1(VALU_DEP_2)
	v_cmp_ne_u32_e32 vcc_lo, 0, v9
	v_dual_cndmask_b32 v7, v11, v7, s0 :: v_dual_cndmask_b32 v4, v6, v4, vcc_lo
	s_delay_alu instid0(VALU_DEP_4) | instskip(NEXT) | instid1(VALU_DEP_2)
	v_cndmask_b32_e32 v5, v5, v10, vcc_lo
	v_cmp_ne_u32_e32 vcc_lo, 0, v7
	s_delay_alu instid0(VALU_DEP_2)
	v_dual_cndmask_b32 v3, v3, v4 :: v_dual_cndmask_b32 v2, v2, v5
.LBB57_11:
	s_and_not1_saveexec_b32 s0, s1
	s_cbranch_execz .LBB57_13
; %bb.12:
	v_cvt_f32_u32_e32 v2, s10
	s_sub_co_i32 s1, 0, s10
	s_delay_alu instid0(VALU_DEP_1) | instskip(SKIP_1) | instid1(TRANS32_DEP_1)
	v_rcp_iflag_f32_e32 v2, v2
	v_nop
	v_mul_f32_e32 v2, 0x4f7ffffe, v2
	s_delay_alu instid0(VALU_DEP_1) | instskip(NEXT) | instid1(VALU_DEP_1)
	v_cvt_u32_f32_e32 v2, v2
	v_mul_lo_u32 v3, s1, v2
	s_delay_alu instid0(VALU_DEP_1) | instskip(NEXT) | instid1(VALU_DEP_1)
	v_mul_hi_u32 v3, v2, v3
	v_add_nc_u32_e32 v2, v2, v3
	s_delay_alu instid0(VALU_DEP_1) | instskip(NEXT) | instid1(VALU_DEP_1)
	v_mul_hi_u32 v2, v0, v2
	v_mul_lo_u32 v2, v2, s10
	s_delay_alu instid0(VALU_DEP_1) | instskip(NEXT) | instid1(VALU_DEP_1)
	v_sub_nc_u32_e32 v2, v0, v2
	v_subrev_nc_u32_e32 v3, s10, v2
	v_cmp_le_u32_e32 vcc_lo, s10, v2
	s_delay_alu instid0(VALU_DEP_2) | instskip(NEXT) | instid1(VALU_DEP_1)
	v_cndmask_b32_e32 v2, v2, v3, vcc_lo
	v_subrev_nc_u32_e32 v3, s10, v2
	v_cmp_le_u32_e32 vcc_lo, s10, v2
	s_delay_alu instid0(VALU_DEP_2)
	v_dual_cndmask_b32 v2, v2, v3 :: v_dual_mov_b32 v3, 0
.LBB57_13:
	s_or_b32 exec_lo, exec_lo, s0
	s_wait_kmcnt 0x0
	s_delay_alu instid0(VALU_DEP_1) | instskip(SKIP_1) | instid1(VALU_DEP_1)
	v_dual_mov_b32 v4, 0 :: v_dual_bitop2_b32 v5, s3, v3 bitop3:0x54
                                        ; implicit-def: $vgpr6_vgpr7
	s_mov_b32 s0, exec_lo
	v_cmpx_ne_u64_e32 0, v[4:5]
	s_xor_b32 s1, exec_lo, s0
	s_cbranch_execz .LBB57_15
; %bb.14:
	s_cvt_f32_u32 s0, s2
	s_cvt_f32_u32 s6, s3
	s_sub_nc_u64 s[8:9], 0, s[2:3]
	s_mov_b32 s13, 0
	v_dual_mov_b32 v6, v2 :: v_dual_mov_b32 v7, v4
	s_fmamk_f32 s0, s6, 0x4f800000, s0
	v_dual_mov_b32 v10, v3 :: v_dual_mov_b32 v11, v4
	v_dual_mov_b32 v15, v4 :: v_dual_mov_b32 v5, v4
	s_delay_alu instid0(SALU_CYCLE_1) | instskip(NEXT) | instid1(TRANS32_DEP_1)
	v_s_rcp_f32 s0, s0
	s_mul_f32 s0, s0, 0x5f7ffffc
	s_delay_alu instid0(SALU_CYCLE_3) | instskip(NEXT) | instid1(SALU_CYCLE_3)
	s_mul_f32 s6, s0, 0x2f800000
	s_trunc_f32 s6, s6
	s_delay_alu instid0(SALU_CYCLE_3) | instskip(SKIP_1) | instid1(SALU_CYCLE_2)
	s_fmamk_f32 s0, s6, 0xcf800000, s0
	s_cvt_u32_f32 s7, s6
	s_cvt_u32_f32 s6, s0
	s_delay_alu instid0(SALU_CYCLE_3) | instskip(NEXT) | instid1(SALU_CYCLE_1)
	s_mul_u64 s[10:11], s[8:9], s[6:7]
	s_mul_hi_u32 s15, s6, s11
	s_mul_i32 s14, s6, s11
	s_mul_hi_u32 s12, s6, s10
	s_mul_i32 s16, s7, s10
	s_add_nc_u64 s[14:15], s[12:13], s[14:15]
	s_mul_hi_u32 s0, s7, s10
	s_mul_hi_u32 s17, s7, s11
	s_mul_i32 s10, s7, s11
	s_add_co_u32 s11, s14, s16
	s_add_co_ci_u32 s12, s15, s0
	s_add_co_ci_u32 s11, s17, 0
	s_delay_alu instid0(SALU_CYCLE_1) | instskip(NEXT) | instid1(SALU_CYCLE_1)
	s_add_nc_u64 s[10:11], s[12:13], s[10:11]
	s_add_co_u32 s6, s6, s10
	s_cselect_b32 s0, -1, 0
	s_delay_alu instid0(SALU_CYCLE_1) | instskip(SKIP_1) | instid1(SALU_CYCLE_1)
	s_cmp_lg_u32 s0, 0
	s_add_co_ci_u32 s7, s7, s11
	s_mul_u64 s[8:9], s[8:9], s[6:7]
	s_delay_alu instid0(SALU_CYCLE_1)
	s_mul_hi_u32 s11, s6, s9
	s_mul_i32 s10, s6, s9
	s_mul_hi_u32 s12, s6, s8
	s_mul_i32 s14, s7, s8
	s_add_nc_u64 s[10:11], s[12:13], s[10:11]
	s_mul_hi_u32 s0, s7, s8
	s_mul_hi_u32 s15, s7, s9
	s_mul_i32 s8, s7, s9
	s_add_co_u32 s9, s10, s14
	s_add_co_ci_u32 s12, s11, s0
	s_add_co_ci_u32 s9, s15, 0
	s_delay_alu instid0(SALU_CYCLE_1) | instskip(NEXT) | instid1(SALU_CYCLE_1)
	s_add_nc_u64 s[8:9], s[12:13], s[8:9]
	s_add_co_u32 s0, s6, s8
	s_cselect_b32 s6, -1, 0
	v_nop
	v_mul_hi_u32 v14, v2, s0
	s_cmp_lg_u32 s6, 0
	s_add_co_ci_u32 s12, s7, s9
	s_mov_b64 s[6:7], 0xffffffff
	v_mul_u64_e32 v[6:7], s[12:13], v[6:7]
	s_and_b64 s[6:7], s[0:1], s[6:7]
	s_delay_alu instid0(SALU_CYCLE_1) | instskip(SKIP_1) | instid1(VALU_DEP_3)
	v_mul_u64_e32 v[12:13], s[6:7], v[10:11]
	v_mul_u64_e32 v[10:11], s[12:13], v[10:11]
	v_add_nc_u64_e32 v[6:7], v[14:15], v[6:7]
	s_delay_alu instid0(VALU_DEP_1) | instskip(NEXT) | instid1(VALU_DEP_2)
	v_add_co_u32 v4, vcc_lo, v6, v12
	v_add_co_ci_u32_e32 v4, vcc_lo, v7, v13, vcc_lo
	s_delay_alu instid0(VALU_DEP_4) | instskip(NEXT) | instid1(VALU_DEP_1)
	v_add_co_ci_u32_e32 v11, vcc_lo, 0, v11, vcc_lo
	v_add_nc_u64_e32 v[4:5], v[4:5], v[10:11]
	s_delay_alu instid0(VALU_DEP_1) | instskip(SKIP_2) | instid1(VALU_DEP_3)
	v_mul_u64_e32 v[6:7], s[2:3], v[4:5]
	v_add_nc_u64_e32 v[10:11], 2, v[4:5]
	v_add_nc_u64_e32 v[12:13], 1, v[4:5]
	v_sub_nc_u32_e32 v9, v3, v7
	s_delay_alu instid0(VALU_DEP_4) | instskip(NEXT) | instid1(VALU_DEP_1)
	v_sub_co_u32 v6, vcc_lo, v2, v6
	v_sub_co_ci_u32_e64 v3, null, v3, v7, vcc_lo
	s_delay_alu instid0(VALU_DEP_3) | instskip(NEXT) | instid1(VALU_DEP_3)
	v_subrev_co_ci_u32_e64 v9, null, s3, v9, vcc_lo
	v_sub_co_u32 v5, s0, v6, s2
	s_delay_alu instid0(VALU_DEP_1) | instskip(NEXT) | instid1(VALU_DEP_2)
	v_subrev_co_ci_u32_e64 v9, null, 0, v9, s0
	v_cmp_le_u32_e32 vcc_lo, s2, v5
	v_cndmask_b32_e64 v5, 0, -1, vcc_lo
	s_delay_alu instid0(VALU_DEP_3)
	v_cmp_le_u32_e32 vcc_lo, s3, v9
	v_cndmask_b32_e64 v7, 0, -1, vcc_lo
	v_cmp_le_u32_e32 vcc_lo, s2, v6
	v_cndmask_b32_e64 v6, 0, -1, vcc_lo
	;; [unrolled: 2-line block ×3, first 2 shown]
	v_cmp_eq_u32_e32 vcc_lo, s3, v9
	v_cndmask_b32_e32 v5, v7, v5, vcc_lo
	v_cmp_eq_u32_e32 vcc_lo, s3, v3
	s_delay_alu instid0(VALU_DEP_4) | instskip(NEXT) | instid1(VALU_DEP_3)
	v_cndmask_b32_e32 v3, v11, v6, vcc_lo
	v_cmp_ne_u32_e32 vcc_lo, 0, v5
	v_cndmask_b32_e32 v5, v12, v10, vcc_lo
	s_delay_alu instid0(VALU_DEP_3) | instskip(NEXT) | instid1(VALU_DEP_2)
	v_cmp_ne_u32_e32 vcc_lo, 0, v3
	v_cndmask_b32_e32 v6, v4, v5, vcc_lo
.LBB57_15:
	s_and_not1_saveexec_b32 s0, s1
	s_cbranch_execz .LBB57_17
; %bb.16:
	v_cvt_f32_u32_e32 v3, s2
	s_sub_co_i32 s1, 0, s2
	s_delay_alu instid0(VALU_DEP_1) | instskip(SKIP_1) | instid1(TRANS32_DEP_1)
	v_rcp_iflag_f32_e32 v3, v3
	v_nop
	v_mul_f32_e32 v3, 0x4f7ffffe, v3
	s_delay_alu instid0(VALU_DEP_1) | instskip(NEXT) | instid1(VALU_DEP_1)
	v_cvt_u32_f32_e32 v3, v3
	v_mul_lo_u32 v4, s1, v3
	s_delay_alu instid0(VALU_DEP_1) | instskip(NEXT) | instid1(VALU_DEP_1)
	v_mul_hi_u32 v4, v3, v4
	v_add_nc_u32_e32 v3, v3, v4
	s_delay_alu instid0(VALU_DEP_1) | instskip(NEXT) | instid1(VALU_DEP_1)
	v_mul_hi_u32 v3, v2, v3
	v_mul_lo_u32 v4, v3, s2
	s_delay_alu instid0(VALU_DEP_1) | instskip(NEXT) | instid1(VALU_DEP_1)
	v_dual_add_nc_u32 v5, 1, v3 :: v_dual_sub_nc_u32 v4, v2, v4
	v_subrev_nc_u32_e32 v6, s2, v4
	v_cmp_le_u32_e32 vcc_lo, s2, v4
	s_delay_alu instid0(VALU_DEP_2) | instskip(NEXT) | instid1(VALU_DEP_1)
	v_dual_cndmask_b32 v4, v4, v6 :: v_dual_cndmask_b32 v3, v3, v5
	v_cmp_le_u32_e32 vcc_lo, s2, v4
	s_delay_alu instid0(VALU_DEP_2) | instskip(NEXT) | instid1(VALU_DEP_1)
	v_add_nc_u32_e32 v5, 1, v3
	v_cndmask_b32_e32 v6, v3, v5, vcc_lo
.LBB57_17:
	s_or_b32 exec_lo, exec_lo, s0
	s_delay_alu instid0(VALU_DEP_1) | instskip(SKIP_1) | instid1(VALU_DEP_2)
	v_mul_lo_u32 v3, v6, s2
	v_add_nc_u64_e32 v[0:1], s[4:5], v[0:1]
	v_sub_nc_u32_e32 v2, v2, v3
	v_xor_b32_e32 v3, 0x80, v8
	s_delay_alu instid0(VALU_DEP_2) | instskip(NEXT) | instid1(VALU_DEP_1)
	v_bitop3_b32 v2, v2, 1, v6 bitop3:0x48
	v_cmp_eq_u32_e32 vcc_lo, 0, v2
	s_delay_alu instid0(VALU_DEP_3)
	v_cndmask_b32_e32 v2, v8, v3, vcc_lo
	global_store_b8 v[0:1], v2, off
.LBB57_18:
	s_endpgm
	.section	.rodata,"a",@progbits
	.p2align	6, 0x0
	.amdhsa_kernel _Z11fill_kernelI18hipblaslt_bf8_fnuzZ21hipblaslt_init_deviceIS0_Ev8ABC_dims24hipblaslt_initializationbPT_mmmmmEUlmE1_EvS5_mmT0_
		.amdhsa_group_segment_fixed_size 0
		.amdhsa_private_segment_fixed_size 0
		.amdhsa_kernarg_size 296
		.amdhsa_user_sgpr_count 2
		.amdhsa_user_sgpr_dispatch_ptr 0
		.amdhsa_user_sgpr_queue_ptr 0
		.amdhsa_user_sgpr_kernarg_segment_ptr 1
		.amdhsa_user_sgpr_dispatch_id 0
		.amdhsa_user_sgpr_kernarg_preload_length 0
		.amdhsa_user_sgpr_kernarg_preload_offset 0
		.amdhsa_user_sgpr_private_segment_size 0
		.amdhsa_wavefront_size32 1
		.amdhsa_uses_dynamic_stack 0
		.amdhsa_enable_private_segment 0
		.amdhsa_system_sgpr_workgroup_id_x 1
		.amdhsa_system_sgpr_workgroup_id_y 0
		.amdhsa_system_sgpr_workgroup_id_z 0
		.amdhsa_system_sgpr_workgroup_info 0
		.amdhsa_system_vgpr_workitem_id 0
		.amdhsa_next_free_vgpr 16
		.amdhsa_next_free_sgpr 20
		.amdhsa_named_barrier_count 0
		.amdhsa_reserve_vcc 1
		.amdhsa_float_round_mode_32 0
		.amdhsa_float_round_mode_16_64 0
		.amdhsa_float_denorm_mode_32 3
		.amdhsa_float_denorm_mode_16_64 3
		.amdhsa_fp16_overflow 0
		.amdhsa_memory_ordered 1
		.amdhsa_forward_progress 1
		.amdhsa_inst_pref_size 18
		.amdhsa_round_robin_scheduling 0
		.amdhsa_exception_fp_ieee_invalid_op 0
		.amdhsa_exception_fp_denorm_src 0
		.amdhsa_exception_fp_ieee_div_zero 0
		.amdhsa_exception_fp_ieee_overflow 0
		.amdhsa_exception_fp_ieee_underflow 0
		.amdhsa_exception_fp_ieee_inexact 0
		.amdhsa_exception_int_div_zero 0
	.end_amdhsa_kernel
	.section	.text._Z11fill_kernelI18hipblaslt_bf8_fnuzZ21hipblaslt_init_deviceIS0_Ev8ABC_dims24hipblaslt_initializationbPT_mmmmmEUlmE1_EvS5_mmT0_,"axG",@progbits,_Z11fill_kernelI18hipblaslt_bf8_fnuzZ21hipblaslt_init_deviceIS0_Ev8ABC_dims24hipblaslt_initializationbPT_mmmmmEUlmE1_EvS5_mmT0_,comdat
.Lfunc_end57:
	.size	_Z11fill_kernelI18hipblaslt_bf8_fnuzZ21hipblaslt_init_deviceIS0_Ev8ABC_dims24hipblaslt_initializationbPT_mmmmmEUlmE1_EvS5_mmT0_, .Lfunc_end57-_Z11fill_kernelI18hipblaslt_bf8_fnuzZ21hipblaslt_init_deviceIS0_Ev8ABC_dims24hipblaslt_initializationbPT_mmmmmEUlmE1_EvS5_mmT0_
                                        ; -- End function
	.set _Z11fill_kernelI18hipblaslt_bf8_fnuzZ21hipblaslt_init_deviceIS0_Ev8ABC_dims24hipblaslt_initializationbPT_mmmmmEUlmE1_EvS5_mmT0_.num_vgpr, 16
	.set _Z11fill_kernelI18hipblaslt_bf8_fnuzZ21hipblaslt_init_deviceIS0_Ev8ABC_dims24hipblaslt_initializationbPT_mmmmmEUlmE1_EvS5_mmT0_.num_agpr, 0
	.set _Z11fill_kernelI18hipblaslt_bf8_fnuzZ21hipblaslt_init_deviceIS0_Ev8ABC_dims24hipblaslt_initializationbPT_mmmmmEUlmE1_EvS5_mmT0_.numbered_sgpr, 20
	.set _Z11fill_kernelI18hipblaslt_bf8_fnuzZ21hipblaslt_init_deviceIS0_Ev8ABC_dims24hipblaslt_initializationbPT_mmmmmEUlmE1_EvS5_mmT0_.num_named_barrier, 0
	.set _Z11fill_kernelI18hipblaslt_bf8_fnuzZ21hipblaslt_init_deviceIS0_Ev8ABC_dims24hipblaslt_initializationbPT_mmmmmEUlmE1_EvS5_mmT0_.private_seg_size, 0
	.set _Z11fill_kernelI18hipblaslt_bf8_fnuzZ21hipblaslt_init_deviceIS0_Ev8ABC_dims24hipblaslt_initializationbPT_mmmmmEUlmE1_EvS5_mmT0_.uses_vcc, 1
	.set _Z11fill_kernelI18hipblaslt_bf8_fnuzZ21hipblaslt_init_deviceIS0_Ev8ABC_dims24hipblaslt_initializationbPT_mmmmmEUlmE1_EvS5_mmT0_.uses_flat_scratch, 0
	.set _Z11fill_kernelI18hipblaslt_bf8_fnuzZ21hipblaslt_init_deviceIS0_Ev8ABC_dims24hipblaslt_initializationbPT_mmmmmEUlmE1_EvS5_mmT0_.has_dyn_sized_stack, 0
	.set _Z11fill_kernelI18hipblaslt_bf8_fnuzZ21hipblaslt_init_deviceIS0_Ev8ABC_dims24hipblaslt_initializationbPT_mmmmmEUlmE1_EvS5_mmT0_.has_recursion, 0
	.set _Z11fill_kernelI18hipblaslt_bf8_fnuzZ21hipblaslt_init_deviceIS0_Ev8ABC_dims24hipblaslt_initializationbPT_mmmmmEUlmE1_EvS5_mmT0_.has_indirect_call, 0
	.section	.AMDGPU.csdata,"",@progbits
; Kernel info:
; codeLenInByte = 2280
; TotalNumSgprs: 22
; NumVgprs: 16
; ScratchSize: 0
; MemoryBound: 0
; FloatMode: 240
; IeeeMode: 1
; LDSByteSize: 0 bytes/workgroup (compile time only)
; SGPRBlocks: 0
; VGPRBlocks: 0
; NumSGPRsForWavesPerEU: 22
; NumVGPRsForWavesPerEU: 16
; NamedBarCnt: 0
; Occupancy: 16
; WaveLimiterHint : 0
; COMPUTE_PGM_RSRC2:SCRATCH_EN: 0
; COMPUTE_PGM_RSRC2:USER_SGPR: 2
; COMPUTE_PGM_RSRC2:TRAP_HANDLER: 0
; COMPUTE_PGM_RSRC2:TGID_X_EN: 1
; COMPUTE_PGM_RSRC2:TGID_Y_EN: 0
; COMPUTE_PGM_RSRC2:TGID_Z_EN: 0
; COMPUTE_PGM_RSRC2:TIDIG_COMP_CNT: 0
	.section	.text._Z11fill_kernelI18hipblaslt_bf8_fnuzZ21hipblaslt_init_deviceIS0_Ev8ABC_dims24hipblaslt_initializationbPT_mmmmmEUlmE2_EvS5_mmT0_,"axG",@progbits,_Z11fill_kernelI18hipblaslt_bf8_fnuzZ21hipblaslt_init_deviceIS0_Ev8ABC_dims24hipblaslt_initializationbPT_mmmmmEUlmE2_EvS5_mmT0_,comdat
	.protected	_Z11fill_kernelI18hipblaslt_bf8_fnuzZ21hipblaslt_init_deviceIS0_Ev8ABC_dims24hipblaslt_initializationbPT_mmmmmEUlmE2_EvS5_mmT0_ ; -- Begin function _Z11fill_kernelI18hipblaslt_bf8_fnuzZ21hipblaslt_init_deviceIS0_Ev8ABC_dims24hipblaslt_initializationbPT_mmmmmEUlmE2_EvS5_mmT0_
	.globl	_Z11fill_kernelI18hipblaslt_bf8_fnuzZ21hipblaslt_init_deviceIS0_Ev8ABC_dims24hipblaslt_initializationbPT_mmmmmEUlmE2_EvS5_mmT0_
	.p2align	8
	.type	_Z11fill_kernelI18hipblaslt_bf8_fnuzZ21hipblaslt_init_deviceIS0_Ev8ABC_dims24hipblaslt_initializationbPT_mmmmmEUlmE2_EvS5_mmT0_,@function
_Z11fill_kernelI18hipblaslt_bf8_fnuzZ21hipblaslt_init_deviceIS0_Ev8ABC_dims24hipblaslt_initializationbPT_mmmmmEUlmE2_EvS5_mmT0_: ; @_Z11fill_kernelI18hipblaslt_bf8_fnuzZ21hipblaslt_init_deviceIS0_Ev8ABC_dims24hipblaslt_initializationbPT_mmmmmEUlmE2_EvS5_mmT0_
; %bb.0:
	s_clause 0x1
	s_load_b32 s2, s[0:1], 0x44
	s_load_b128 s[12:15], s[0:1], 0x0
	s_bfe_u32 s3, ttmp6, 0x4000c
	s_and_b32 s4, ttmp6, 15
	s_add_co_i32 s3, s3, 1
	s_getreg_b32 s5, hwreg(HW_REG_IB_STS2, 6, 4)
	s_mul_i32 s3, ttmp9, s3
	v_mov_b32_e32 v3, 0
	s_add_co_i32 s4, s4, s3
	s_wait_kmcnt 0x0
	s_and_b32 s2, s2, 0xffff
	s_cmp_eq_u32 s5, 0
	s_cselect_b32 s3, ttmp9, s4
	s_delay_alu instid0(SALU_CYCLE_1) | instskip(SKIP_1) | instid1(VALU_DEP_1)
	v_mad_u32 v2, s3, s2, v0
	s_mov_b32 s2, exec_lo
	v_cmpx_gt_u64_e64 s[14:15], v[2:3]
	s_cbranch_execz .LBB58_26
; %bb.1:
	s_clause 0x1
	s_load_b64 s[2:3], s[0:1], 0x10
	s_load_b256 s[4:11], s[0:1], 0x18
	s_wait_xcnt 0x0
	s_mov_b32 s0, exec_lo
	v_mov_b32_e32 v4, v3
	s_wait_kmcnt 0x0
	v_add_nc_u64_e32 v[0:1], s[2:3], v[2:3]
                                        ; implicit-def: $vgpr2_vgpr3
	s_delay_alu instid0(VALU_DEP_1) | instskip(NEXT) | instid1(VALU_DEP_1)
	v_or_b32_e32 v5, s9, v1
	v_cmpx_ne_u64_e32 0, v[4:5]
	s_xor_b32 s1, exec_lo, s0
	s_cbranch_execz .LBB58_3
; %bb.2:
	s_cvt_f32_u32 s0, s8
	s_cvt_f32_u32 s2, s9
	s_sub_nc_u64 s[14:15], 0, s[8:9]
	s_mov_b32 s19, 0
	v_dual_mov_b32 v3, 0 :: v_dual_mov_b32 v2, v0
	s_fmamk_f32 s0, s2, 0x4f800000, s0
	s_delay_alu instid0(SALU_CYCLE_3) | instskip(NEXT) | instid1(TRANS32_DEP_1)
	v_s_rcp_f32 s0, s0
	s_mul_f32 s0, s0, 0x5f7ffffc
	s_delay_alu instid0(SALU_CYCLE_3) | instskip(NEXT) | instid1(SALU_CYCLE_3)
	s_mul_f32 s2, s0, 0x2f800000
	s_trunc_f32 s2, s2
	s_delay_alu instid0(SALU_CYCLE_3) | instskip(SKIP_1) | instid1(SALU_CYCLE_2)
	s_fmamk_f32 s0, s2, 0xcf800000, s0
	s_cvt_u32_f32 s3, s2
	s_cvt_u32_f32 s2, s0
	s_delay_alu instid0(SALU_CYCLE_3) | instskip(NEXT) | instid1(SALU_CYCLE_1)
	s_mul_u64 s[16:17], s[14:15], s[2:3]
	s_mul_hi_u32 s21, s2, s17
	s_mul_i32 s20, s2, s17
	s_mul_hi_u32 s18, s2, s16
	s_mul_i32 s22, s3, s16
	s_add_nc_u64 s[20:21], s[18:19], s[20:21]
	s_mul_hi_u32 s0, s3, s16
	s_mul_hi_u32 s23, s3, s17
	s_mul_i32 s16, s3, s17
	s_add_co_u32 s17, s20, s22
	s_add_co_ci_u32 s18, s21, s0
	s_add_co_ci_u32 s17, s23, 0
	s_delay_alu instid0(SALU_CYCLE_1) | instskip(NEXT) | instid1(SALU_CYCLE_1)
	s_add_nc_u64 s[16:17], s[18:19], s[16:17]
	s_add_co_u32 s2, s2, s16
	s_cselect_b32 s0, -1, 0
	s_delay_alu instid0(SALU_CYCLE_1) | instskip(SKIP_1) | instid1(SALU_CYCLE_1)
	s_cmp_lg_u32 s0, 0
	s_add_co_ci_u32 s3, s3, s17
	s_mul_u64 s[14:15], s[14:15], s[2:3]
	s_delay_alu instid0(SALU_CYCLE_1)
	s_mul_hi_u32 s17, s2, s15
	s_mul_i32 s16, s2, s15
	s_mul_hi_u32 s18, s2, s14
	s_mul_i32 s20, s3, s14
	s_add_nc_u64 s[16:17], s[18:19], s[16:17]
	s_mul_hi_u32 s0, s3, s14
	s_mul_hi_u32 s21, s3, s15
	s_mul_i32 s14, s3, s15
	s_add_co_u32 s15, s16, s20
	s_add_co_ci_u32 s18, s17, s0
	s_add_co_ci_u32 s15, s21, 0
	s_delay_alu instid0(SALU_CYCLE_1) | instskip(NEXT) | instid1(SALU_CYCLE_1)
	s_add_nc_u64 s[14:15], s[18:19], s[14:15]
	s_add_co_u32 s0, s2, s14
	s_cselect_b32 s2, -1, 0
	s_delay_alu instid0(SALU_CYCLE_1)
	s_cmp_lg_u32 s2, 0
	s_add_co_ci_u32 s18, s3, s15
	s_mov_b64 s[2:3], 0xffffffff
	v_mul_u64_e32 v[4:5], s[18:19], v[2:3]
	v_mul_hi_u32 v2, v0, s0
	s_and_b64 s[2:3], s[0:1], s[2:3]
	s_delay_alu instid0(VALU_DEP_1) | instskip(SKIP_1) | instid1(VALU_DEP_1)
	v_add_nc_u64_e32 v[4:5], v[2:3], v[4:5]
	v_mov_b32_e32 v2, v1
	v_mul_u64_e32 v[6:7], s[2:3], v[2:3]
	v_mul_u64_e32 v[8:9], s[18:19], v[2:3]
	s_delay_alu instid0(VALU_DEP_2) | instskip(NEXT) | instid1(VALU_DEP_3)
	v_add_co_u32 v2, vcc_lo, v4, v6
	v_add_co_ci_u32_e32 v2, vcc_lo, v5, v7, vcc_lo
	s_delay_alu instid0(VALU_DEP_3) | instskip(NEXT) | instid1(VALU_DEP_1)
	v_add_co_ci_u32_e32 v9, vcc_lo, 0, v9, vcc_lo
	v_add_nc_u64_e32 v[2:3], v[2:3], v[8:9]
	s_delay_alu instid0(VALU_DEP_1) | instskip(NEXT) | instid1(VALU_DEP_1)
	v_mul_u64_e32 v[4:5], s[8:9], v[2:3]
	v_sub_nc_u32_e32 v6, v1, v5
	s_delay_alu instid0(VALU_DEP_2) | instskip(NEXT) | instid1(VALU_DEP_1)
	v_sub_co_u32 v4, vcc_lo, v0, v4
	v_sub_co_ci_u32_e64 v11, null, v1, v5, vcc_lo
	s_delay_alu instid0(VALU_DEP_3) | instskip(NEXT) | instid1(VALU_DEP_3)
	v_subrev_co_ci_u32_e64 v6, null, s9, v6, vcc_lo
	v_sub_co_u32 v8, s0, v4, s8
	v_cmp_le_u32_e32 vcc_lo, s8, v4
	s_delay_alu instid0(VALU_DEP_3) | instskip(NEXT) | instid1(VALU_DEP_3)
	v_subrev_co_ci_u32_e64 v9, null, 0, v6, s0
	v_cmp_le_u32_e64 s0, s8, v8
	v_add_nc_u64_e32 v[6:7], 2, v[2:3]
	v_cndmask_b32_e64 v12, 0, -1, vcc_lo
	s_delay_alu instid0(VALU_DEP_4) | instskip(SKIP_3) | instid1(VALU_DEP_1)
	v_cmp_eq_u32_e32 vcc_lo, s9, v9
	v_add_nc_u64_e32 v[4:5], 1, v[2:3]
	v_cndmask_b32_e64 v8, 0, -1, s0
	v_cmp_le_u32_e64 s0, s9, v9
	v_cndmask_b32_e64 v10, 0, -1, s0
	v_cmp_eq_u32_e64 s0, s9, v11
	s_delay_alu instid0(VALU_DEP_2) | instskip(SKIP_2) | instid1(VALU_DEP_3)
	v_cndmask_b32_e32 v8, v10, v8, vcc_lo
	v_cmp_le_u32_e32 vcc_lo, s9, v11
	v_cndmask_b32_e64 v9, 0, -1, vcc_lo
	v_cmp_ne_u32_e32 vcc_lo, 0, v8
	s_delay_alu instid0(VALU_DEP_2) | instskip(SKIP_1) | instid1(VALU_DEP_2)
	v_dual_cndmask_b32 v8, v9, v12, s0 :: v_dual_cndmask_b32 v4, v4, v6, vcc_lo
	v_cndmask_b32_e32 v5, v5, v7, vcc_lo
	v_cmp_ne_u32_e32 vcc_lo, 0, v8
	s_delay_alu instid0(VALU_DEP_2)
	v_dual_cndmask_b32 v3, v3, v5 :: v_dual_cndmask_b32 v2, v2, v4
.LBB58_3:
	s_and_not1_saveexec_b32 s0, s1
	s_cbranch_execz .LBB58_5
; %bb.4:
	v_cvt_f32_u32_e32 v2, s8
	s_sub_co_i32 s1, 0, s8
	s_delay_alu instid0(VALU_DEP_1) | instskip(SKIP_1) | instid1(TRANS32_DEP_1)
	v_rcp_iflag_f32_e32 v2, v2
	v_nop
	v_mul_f32_e32 v2, 0x4f7ffffe, v2
	s_delay_alu instid0(VALU_DEP_1) | instskip(NEXT) | instid1(VALU_DEP_1)
	v_cvt_u32_f32_e32 v2, v2
	v_mul_lo_u32 v3, s1, v2
	s_delay_alu instid0(VALU_DEP_1) | instskip(NEXT) | instid1(VALU_DEP_1)
	v_mul_hi_u32 v3, v2, v3
	v_add_nc_u32_e32 v2, v2, v3
	s_delay_alu instid0(VALU_DEP_1) | instskip(NEXT) | instid1(VALU_DEP_1)
	v_mul_hi_u32 v2, v0, v2
	v_mul_lo_u32 v3, v2, s8
	s_delay_alu instid0(VALU_DEP_1) | instskip(NEXT) | instid1(VALU_DEP_1)
	v_dual_add_nc_u32 v4, 1, v2 :: v_dual_sub_nc_u32 v3, v0, v3
	v_subrev_nc_u32_e32 v5, s8, v3
	v_cmp_le_u32_e32 vcc_lo, s8, v3
	s_delay_alu instid0(VALU_DEP_2) | instskip(NEXT) | instid1(VALU_DEP_1)
	v_dual_cndmask_b32 v3, v3, v5 :: v_dual_cndmask_b32 v2, v2, v4
	v_cmp_le_u32_e32 vcc_lo, s8, v3
	s_delay_alu instid0(VALU_DEP_2) | instskip(NEXT) | instid1(VALU_DEP_1)
	v_dual_mov_b32 v3, 0 :: v_dual_add_nc_u32 v4, 1, v2
	v_cndmask_b32_e32 v2, v2, v4, vcc_lo
.LBB58_5:
	s_or_b32 exec_lo, exec_lo, s0
	s_delay_alu instid0(VALU_DEP_1) | instskip(SKIP_2) | instid1(VALU_DEP_2)
	v_mul_u64_e32 v[4:5], s[8:9], v[2:3]
                                        ; implicit-def: $vgpr8_vgpr9
	s_mov_b32 s0, exec_lo
	v_mov_b32_e32 v6, 0
	v_sub_nc_u64_e32 v[4:5], v[0:1], v[4:5]
	s_delay_alu instid0(VALU_DEP_1) | instskip(NEXT) | instid1(VALU_DEP_1)
	v_or_b32_e32 v7, s11, v5
	v_cmpx_ne_u64_e32 0, v[6:7]
	s_xor_b32 s1, exec_lo, s0
	s_cbranch_execz .LBB58_7
; %bb.6:
	s_cvt_f32_u32 s0, s10
	s_cvt_f32_u32 s2, s11
	s_sub_nc_u64 s[8:9], 0, s[10:11]
	s_mov_b32 s17, 0
	v_dual_mov_b32 v8, v4 :: v_dual_mov_b32 v9, v6
	s_fmamk_f32 s0, s2, 0x4f800000, s0
	v_dual_mov_b32 v10, v5 :: v_dual_mov_b32 v11, v6
	v_dual_mov_b32 v15, v6 :: v_dual_mov_b32 v7, v6
	s_delay_alu instid0(SALU_CYCLE_1) | instskip(NEXT) | instid1(TRANS32_DEP_1)
	v_s_rcp_f32 s0, s0
	s_mul_f32 s0, s0, 0x5f7ffffc
	s_delay_alu instid0(SALU_CYCLE_3) | instskip(NEXT) | instid1(SALU_CYCLE_3)
	s_mul_f32 s2, s0, 0x2f800000
	s_trunc_f32 s2, s2
	s_delay_alu instid0(SALU_CYCLE_3) | instskip(SKIP_1) | instid1(SALU_CYCLE_2)
	s_fmamk_f32 s0, s2, 0xcf800000, s0
	s_cvt_u32_f32 s3, s2
	s_cvt_u32_f32 s2, s0
	s_delay_alu instid0(SALU_CYCLE_3) | instskip(NEXT) | instid1(SALU_CYCLE_1)
	s_mul_u64 s[14:15], s[8:9], s[2:3]
	s_mul_hi_u32 s19, s2, s15
	s_mul_i32 s18, s2, s15
	s_mul_hi_u32 s16, s2, s14
	s_mul_i32 s20, s3, s14
	s_add_nc_u64 s[18:19], s[16:17], s[18:19]
	s_mul_hi_u32 s0, s3, s14
	s_mul_hi_u32 s21, s3, s15
	s_mul_i32 s14, s3, s15
	s_add_co_u32 s15, s18, s20
	s_add_co_ci_u32 s16, s19, s0
	s_add_co_ci_u32 s15, s21, 0
	s_delay_alu instid0(SALU_CYCLE_1) | instskip(NEXT) | instid1(SALU_CYCLE_1)
	s_add_nc_u64 s[14:15], s[16:17], s[14:15]
	s_add_co_u32 s2, s2, s14
	s_cselect_b32 s0, -1, 0
	s_delay_alu instid0(SALU_CYCLE_1) | instskip(SKIP_1) | instid1(SALU_CYCLE_1)
	s_cmp_lg_u32 s0, 0
	s_add_co_ci_u32 s3, s3, s15
	s_mul_u64 s[8:9], s[8:9], s[2:3]
	s_delay_alu instid0(SALU_CYCLE_1)
	s_mul_hi_u32 s15, s2, s9
	s_mul_i32 s14, s2, s9
	s_mul_hi_u32 s16, s2, s8
	s_mul_i32 s18, s3, s8
	s_add_nc_u64 s[14:15], s[16:17], s[14:15]
	s_mul_hi_u32 s0, s3, s8
	s_mul_hi_u32 s19, s3, s9
	s_mul_i32 s8, s3, s9
	s_add_co_u32 s9, s14, s18
	s_add_co_ci_u32 s16, s15, s0
	s_add_co_ci_u32 s9, s19, 0
	s_delay_alu instid0(SALU_CYCLE_1) | instskip(NEXT) | instid1(SALU_CYCLE_1)
	s_add_nc_u64 s[8:9], s[16:17], s[8:9]
	s_add_co_u32 s0, s2, s8
	s_cselect_b32 s2, -1, 0
	v_nop
	v_mul_hi_u32 v14, v4, s0
	s_cmp_lg_u32 s2, 0
	s_add_co_ci_u32 s16, s3, s9
	s_mov_b64 s[2:3], 0xffffffff
	v_mul_u64_e32 v[8:9], s[16:17], v[8:9]
	s_and_b64 s[2:3], s[0:1], s[2:3]
	s_delay_alu instid0(SALU_CYCLE_1) | instskip(SKIP_1) | instid1(VALU_DEP_3)
	v_mul_u64_e32 v[12:13], s[2:3], v[10:11]
	v_mul_u64_e32 v[10:11], s[16:17], v[10:11]
	v_add_nc_u64_e32 v[8:9], v[14:15], v[8:9]
	s_delay_alu instid0(VALU_DEP_1) | instskip(NEXT) | instid1(VALU_DEP_2)
	v_add_co_u32 v6, vcc_lo, v8, v12
	v_add_co_ci_u32_e32 v6, vcc_lo, v9, v13, vcc_lo
	s_delay_alu instid0(VALU_DEP_4) | instskip(NEXT) | instid1(VALU_DEP_1)
	v_add_co_ci_u32_e32 v11, vcc_lo, 0, v11, vcc_lo
	v_add_nc_u64_e32 v[6:7], v[6:7], v[10:11]
	s_delay_alu instid0(VALU_DEP_1) | instskip(NEXT) | instid1(VALU_DEP_1)
	v_mul_u64_e32 v[8:9], s[10:11], v[6:7]
	v_sub_nc_u32_e32 v10, v5, v9
	s_delay_alu instid0(VALU_DEP_2) | instskip(NEXT) | instid1(VALU_DEP_1)
	v_sub_co_u32 v8, vcc_lo, v4, v8
	v_sub_co_ci_u32_e64 v15, null, v5, v9, vcc_lo
	s_delay_alu instid0(VALU_DEP_3) | instskip(NEXT) | instid1(VALU_DEP_3)
	v_subrev_co_ci_u32_e64 v10, null, s11, v10, vcc_lo
	v_sub_co_u32 v12, s0, v8, s10
	v_cmp_le_u32_e32 vcc_lo, s10, v8
	s_delay_alu instid0(VALU_DEP_3) | instskip(NEXT) | instid1(VALU_DEP_3)
	v_subrev_co_ci_u32_e64 v13, null, 0, v10, s0
	v_cmp_le_u32_e64 s0, s10, v12
	v_add_nc_u64_e32 v[10:11], 2, v[6:7]
	v_cndmask_b32_e64 v16, 0, -1, vcc_lo
	s_delay_alu instid0(VALU_DEP_4) | instskip(SKIP_3) | instid1(VALU_DEP_1)
	v_cmp_eq_u32_e32 vcc_lo, s11, v13
	v_add_nc_u64_e32 v[8:9], 1, v[6:7]
	v_cndmask_b32_e64 v12, 0, -1, s0
	v_cmp_le_u32_e64 s0, s11, v13
	v_cndmask_b32_e64 v14, 0, -1, s0
	v_cmp_eq_u32_e64 s0, s11, v15
	s_delay_alu instid0(VALU_DEP_2) | instskip(SKIP_2) | instid1(VALU_DEP_3)
	v_cndmask_b32_e32 v12, v14, v12, vcc_lo
	v_cmp_le_u32_e32 vcc_lo, s11, v15
	v_cndmask_b32_e64 v13, 0, -1, vcc_lo
	v_cmp_ne_u32_e32 vcc_lo, 0, v12
	s_delay_alu instid0(VALU_DEP_2) | instskip(SKIP_1) | instid1(VALU_DEP_2)
	v_dual_cndmask_b32 v12, v13, v16, s0 :: v_dual_cndmask_b32 v8, v8, v10, vcc_lo
	v_cndmask_b32_e32 v9, v9, v11, vcc_lo
	v_cmp_ne_u32_e32 vcc_lo, 0, v12
	s_delay_alu instid0(VALU_DEP_2)
	v_dual_cndmask_b32 v8, v6, v8 :: v_dual_cndmask_b32 v9, v7, v9
.LBB58_7:
	s_and_not1_saveexec_b32 s0, s1
	s_cbranch_execz .LBB58_9
; %bb.8:
	v_cvt_f32_u32_e32 v6, s10
	s_sub_co_i32 s1, 0, s10
	s_delay_alu instid0(VALU_DEP_1) | instskip(SKIP_1) | instid1(TRANS32_DEP_1)
	v_rcp_iflag_f32_e32 v6, v6
	v_nop
	v_mul_f32_e32 v6, 0x4f7ffffe, v6
	s_delay_alu instid0(VALU_DEP_1) | instskip(NEXT) | instid1(VALU_DEP_1)
	v_cvt_u32_f32_e32 v6, v6
	v_mul_lo_u32 v7, s1, v6
	s_delay_alu instid0(VALU_DEP_1) | instskip(NEXT) | instid1(VALU_DEP_1)
	v_mul_hi_u32 v7, v6, v7
	v_add_nc_u32_e32 v6, v6, v7
	s_delay_alu instid0(VALU_DEP_1) | instskip(NEXT) | instid1(VALU_DEP_1)
	v_mul_hi_u32 v6, v4, v6
	v_mul_lo_u32 v7, v6, s10
	s_delay_alu instid0(VALU_DEP_1) | instskip(NEXT) | instid1(VALU_DEP_1)
	v_dual_add_nc_u32 v8, 1, v6 :: v_dual_sub_nc_u32 v7, v4, v7
	v_subrev_nc_u32_e32 v9, s10, v7
	v_cmp_le_u32_e32 vcc_lo, s10, v7
	s_delay_alu instid0(VALU_DEP_2) | instskip(NEXT) | instid1(VALU_DEP_4)
	v_dual_cndmask_b32 v7, v7, v9, vcc_lo :: v_dual_mov_b32 v9, 0
	v_cndmask_b32_e32 v6, v6, v8, vcc_lo
	s_delay_alu instid0(VALU_DEP_2) | instskip(NEXT) | instid1(VALU_DEP_2)
	v_cmp_le_u32_e32 vcc_lo, s10, v7
	v_add_nc_u32_e32 v8, 1, v6
	s_delay_alu instid0(VALU_DEP_1)
	v_cndmask_b32_e32 v8, v6, v8, vcc_lo
.LBB58_9:
	s_or_b32 exec_lo, exec_lo, s0
	s_delay_alu instid0(VALU_DEP_1) | instskip(SKIP_1) | instid1(VALU_DEP_1)
	v_mul_u64_e32 v[6:7], s[10:11], v[8:9]
	v_mad_nc_u64_u32 v[8:9], v2, s6, v[8:9]
	v_mad_u32 v3, v3, s6, v9
	s_delay_alu instid0(VALU_DEP_1) | instskip(NEXT) | instid1(VALU_DEP_4)
	v_mad_u32 v2, v2, s7, v3
	v_sub_nc_u64_e32 v[4:5], v[4:5], v[6:7]
	s_delay_alu instid0(VALU_DEP_1) | instskip(NEXT) | instid1(VALU_DEP_1)
	v_mad_nc_u64_u32 v[4:5], v8, s4, v[4:5]
	v_mad_u32 v2, v2, s4, v5
	s_delay_alu instid0(VALU_DEP_2) | instskip(NEXT) | instid1(VALU_DEP_2)
	v_cvt_f64_u32_e32 v[6:7], v4
	v_mad_u32 v5, v8, s5, v2
                                        ; implicit-def: $vgpr8
	s_delay_alu instid0(VALU_DEP_1) | instskip(SKIP_1) | instid1(VALU_DEP_2)
	v_cvt_f64_u32_e32 v[2:3], v5
	v_cmp_lt_u64_e32 vcc_lo, 0x3fffffff, v[4:5]
                                        ; implicit-def: $vgpr4_vgpr5
	v_ldexp_f64 v[2:3], v[2:3], 32
	s_delay_alu instid0(VALU_DEP_1) | instskip(SKIP_1) | instid1(SALU_CYCLE_1)
	v_add_f64_e32 v[2:3], v[2:3], v[6:7]
                                        ; implicit-def: $vgpr6_vgpr7
	s_and_saveexec_b32 s0, vcc_lo
	s_xor_b32 s0, exec_lo, s0
	s_cbranch_execz .LBB58_11
; %bb.10:
	s_delay_alu instid0(VALU_DEP_1) | instskip(SKIP_3) | instid1(VALU_DEP_3)
	v_trig_preop_f64 v[4:5], v[2:3], 0
	v_trig_preop_f64 v[6:7], v[2:3], 1
	;; [unrolled: 1-line block ×3, first 2 shown]
	s_mov_b64 s[2:3], 0x3ff921fb54442d18
	v_dual_mul_f64 v[8:9], v[4:5], v[2:3] :: v_dual_mov_b32 v24, 0
	s_delay_alu instid0(VALU_DEP_3) | instskip(NEXT) | instid1(VALU_DEP_3)
	v_mul_f64_e32 v[10:11], v[6:7], v[2:3]
	v_mul_f64_e32 v[22:23], v[16:17], v[2:3]
	s_delay_alu instid0(VALU_DEP_3) | instskip(NEXT) | instid1(VALU_DEP_3)
	v_fma_f64 v[4:5], v[4:5], v[2:3], -v[8:9]
	v_fma_f64 v[6:7], v[6:7], v[2:3], -v[10:11]
	s_delay_alu instid0(VALU_DEP_3) | instskip(NEXT) | instid1(VALU_DEP_3)
	v_fma_f64 v[16:17], v[16:17], v[2:3], -v[22:23]
	v_add_f64_e32 v[12:13], v[10:11], v[4:5]
	s_delay_alu instid0(VALU_DEP_1) | instskip(SKIP_1) | instid1(VALU_DEP_2)
	v_add_f64_e64 v[14:15], v[12:13], -v[10:11]
	v_add_f64_e32 v[20:21], v[8:9], v[12:13]
	v_add_f64_e64 v[18:19], v[12:13], -v[14:15]
	v_add_f64_e64 v[4:5], v[4:5], -v[14:15]
	s_delay_alu instid0(VALU_DEP_3) | instskip(NEXT) | instid1(VALU_DEP_3)
	v_ldexp_f64 v[14:15], v[20:21], -2
	v_add_f64_e64 v[10:11], v[10:11], -v[18:19]
	v_add_f64_e32 v[18:19], v[22:23], v[6:7]
	s_delay_alu instid0(VALU_DEP_3) | instskip(NEXT) | instid1(VALU_DEP_3)
	v_cmp_neq_f64_e64 vcc_lo, 0x7ff00000, |v[14:15]|
	v_add_f64_e32 v[4:5], v[4:5], v[10:11]
	v_fract_f64_e32 v[10:11], v[14:15]
	s_delay_alu instid0(VALU_DEP_1) | instskip(NEXT) | instid1(VALU_DEP_1)
	v_ldexp_f64 v[10:11], v[10:11], 2
	v_dual_add_f64 v[8:9], v[20:21], -v[8:9] :: v_dual_cndmask_b32 v10, 0, v10, vcc_lo
	s_delay_alu instid0(VALU_DEP_1) | instskip(SKIP_1) | instid1(VALU_DEP_1)
	v_dual_add_f64 v[8:9], v[12:13], -v[8:9] :: v_dual_cndmask_b32 v11, 0, v11, vcc_lo
	v_add_f64_e32 v[12:13], v[18:19], v[4:5]
	v_add_f64_e32 v[14:15], v[8:9], v[12:13]
	v_add_f64_e64 v[26:27], v[12:13], -v[18:19]
	s_delay_alu instid0(VALU_DEP_2) | instskip(NEXT) | instid1(VALU_DEP_2)
	v_add_f64_e32 v[20:21], v[14:15], v[10:11]
	v_add_f64_e64 v[32:33], v[12:13], -v[26:27]
	v_add_f64_e64 v[4:5], v[4:5], -v[26:27]
	;; [unrolled: 1-line block ×3, first 2 shown]
	s_delay_alu instid0(VALU_DEP_4) | instskip(SKIP_1) | instid1(VALU_DEP_3)
	v_cmp_gt_f64_e32 vcc_lo, 0, v[20:21]
	v_add_f64_e64 v[20:21], v[18:19], -v[22:23]
	v_add_f64_e64 v[8:9], v[12:13], -v[8:9]
	v_cndmask_b32_e64 v25, 0, 0x40100000, vcc_lo
	s_delay_alu instid0(VALU_DEP_3) | instskip(SKIP_2) | instid1(VALU_DEP_4)
	v_add_f64_e64 v[30:31], v[18:19], -v[20:21]
	v_add_f64_e64 v[6:7], v[6:7], -v[20:21]
	;; [unrolled: 1-line block ×3, first 2 shown]
	v_add_f64_e32 v[10:11], v[10:11], v[24:25]
	s_delay_alu instid0(VALU_DEP_4) | instskip(NEXT) | instid1(VALU_DEP_3)
	v_add_f64_e64 v[20:21], v[22:23], -v[30:31]
	v_add_f64_e32 v[4:5], v[4:5], v[18:19]
	s_delay_alu instid0(VALU_DEP_3) | instskip(NEXT) | instid1(VALU_DEP_3)
	v_add_f64_e32 v[28:29], v[14:15], v[10:11]
	v_add_f64_e32 v[6:7], v[6:7], v[20:21]
	s_delay_alu instid0(VALU_DEP_2) | instskip(NEXT) | instid1(VALU_DEP_2)
	v_cvt_i32_f64_e32 v25, v[28:29]
	v_add_f64_e32 v[4:5], v[6:7], v[4:5]
	s_delay_alu instid0(VALU_DEP_2) | instskip(NEXT) | instid1(VALU_DEP_2)
	v_cvt_f64_i32_e32 v[26:27], v25
	v_add_f64_e32 v[4:5], v[16:17], v[4:5]
	s_delay_alu instid0(VALU_DEP_2) | instskip(NEXT) | instid1(VALU_DEP_2)
	v_add_f64_e64 v[10:11], v[10:11], -v[26:27]
	v_add_f64_e32 v[4:5], v[8:9], v[4:5]
	s_delay_alu instid0(VALU_DEP_2) | instskip(NEXT) | instid1(VALU_DEP_1)
	v_add_f64_e32 v[6:7], v[14:15], v[10:11]
	v_add_f64_e64 v[10:11], v[6:7], -v[10:11]
	v_cmp_le_f64_e32 vcc_lo, 0.5, v[6:7]
	s_delay_alu instid0(VALU_DEP_2) | instskip(SKIP_2) | instid1(VALU_DEP_1)
	v_add_f64_e64 v[10:11], v[14:15], -v[10:11]
	v_add_co_ci_u32_e64 v8, null, 0, v25, vcc_lo
	v_cndmask_b32_e64 v25, 0, 0x3ff00000, vcc_lo
	v_add_f64_e64 v[6:7], v[6:7], -v[24:25]
	s_delay_alu instid0(VALU_DEP_4) | instskip(NEXT) | instid1(VALU_DEP_1)
	v_add_f64_e32 v[4:5], v[4:5], v[10:11]
	v_add_f64_e32 v[10:11], v[6:7], v[4:5]
	s_delay_alu instid0(VALU_DEP_1) | instskip(SKIP_1) | instid1(VALU_DEP_2)
	v_mul_f64_e32 v[12:13], 0x3ff921fb54442d18, v[10:11]
	v_add_f64_e64 v[6:7], v[10:11], -v[6:7]
	v_fma_f64 v[14:15], v[10:11], s[2:3], -v[12:13]
	s_delay_alu instid0(VALU_DEP_2) | instskip(NEXT) | instid1(VALU_DEP_2)
	v_add_f64_e64 v[4:5], v[4:5], -v[6:7]
	v_fmamk_f64 v[6:7], v[10:11], 0x3c91a62633145c07, v[14:15]
	s_delay_alu instid0(VALU_DEP_1) | instskip(NEXT) | instid1(VALU_DEP_1)
	v_fmac_f64_e32 v[6:7], 0x3ff921fb54442d18, v[4:5]
	v_add_f64_e32 v[4:5], v[12:13], v[6:7]
	s_delay_alu instid0(VALU_DEP_1) | instskip(NEXT) | instid1(VALU_DEP_1)
	v_add_f64_e64 v[10:11], v[4:5], -v[12:13]
	v_add_f64_e64 v[6:7], v[6:7], -v[10:11]
.LBB58_11:
	s_and_not1_saveexec_b32 s0, s0
	s_cbranch_execz .LBB58_13
; %bb.12:
	s_delay_alu instid0(VALU_DEP_1) | instskip(NEXT) | instid1(VALU_DEP_1)
	v_mul_f64_e32 v[4:5], 0x3fe45f306dc9c883, v[2:3]
	v_rndne_f64_e32 v[8:9], v[4:5]
	s_delay_alu instid0(VALU_DEP_1) | instskip(SKIP_1) | instid1(VALU_DEP_1)
	v_mul_f64_e32 v[4:5], 0xbc91a62633145c00, v[8:9]
	v_fmamk_f64 v[6:7], v[8:9], 0xbff921fb54442d18, v[2:3]
	v_add_f64_e32 v[10:11], v[6:7], v[4:5]
	s_delay_alu instid0(VALU_DEP_1) | instskip(SKIP_1) | instid1(VALU_DEP_1)
	v_add_f64_e64 v[12:13], v[6:7], -v[10:11]
	v_fmamk_f64 v[6:7], v[8:9], 0xbc91a62633145c00, v[6:7]
	v_add_f64_e64 v[10:11], v[10:11], -v[6:7]
	s_delay_alu instid0(VALU_DEP_3) | instskip(SKIP_1) | instid1(VALU_DEP_2)
	v_add_f64_e32 v[12:13], v[12:13], v[4:5]
	v_fmamk_f64 v[4:5], v[8:9], 0x3c91a62633145c00, v[4:5]
	v_add_f64_e32 v[10:11], v[10:11], v[12:13]
	s_delay_alu instid0(VALU_DEP_1) | instskip(NEXT) | instid1(VALU_DEP_1)
	v_add_f64_e64 v[4:5], v[10:11], -v[4:5]
	v_fmamk_f64 v[10:11], v[8:9], 0xb97b839a252049c0, v[4:5]
	v_cvt_i32_f64_e32 v8, v[8:9]
	s_delay_alu instid0(VALU_DEP_2) | instskip(NEXT) | instid1(VALU_DEP_1)
	v_add_f64_e32 v[4:5], v[6:7], v[10:11]
	v_add_f64_e64 v[6:7], v[4:5], -v[6:7]
	s_delay_alu instid0(VALU_DEP_1)
	v_add_f64_e64 v[6:7], v[10:11], -v[6:7]
.LBB58_13:
	s_or_b32 exec_lo, exec_lo, s0
	v_mul_f64_e32 v[10:11], v[4:5], v[4:5]
	s_delay_alu instid0(VALU_DEP_2) | instskip(SKIP_3) | instid1(VALU_DEP_2)
	v_dual_mul_f64 v[18:19], 0.5, v[6:7] :: v_dual_lshlrev_b32 v2, 30, v8
	v_and_b32_e32 v8, 1, v8
	s_mov_b64 s[0:1], 0x3de5e0b2f9a43bb8
	s_mov_b32 s2, exec_lo
	v_bitop3_b32 v9, v2, 0x80000000, v3 bitop3:0x48
	s_delay_alu instid0(VALU_DEP_2) | instskip(SKIP_4) | instid1(VALU_DEP_3)
	v_cmp_eq_u32_e32 vcc_lo, 0, v8
	v_dual_mul_f64 v[12:13], 0.5, v[10:11] :: v_dual_mov_b32 v8, 0
	v_mul_f64_e64 v[20:21], v[4:5], -v[10:11]
	v_fmaak_f64 v[22:23], s[0:1], v[10:11], 0xbe5ae600b42fdfa7
	s_mov_b64 s[0:1], 0xbda907db46cc5e42
	v_add_f64_e64 v[14:15], -v[12:13], 1.0
	s_delay_alu instid0(VALU_DEP_1) | instskip(NEXT) | instid1(VALU_DEP_1)
	v_add_f64_e64 v[16:17], -v[14:15], 1.0
	v_add_f64_e64 v[12:13], v[16:17], -v[12:13]
	s_delay_alu instid0(VALU_DEP_4) | instskip(SKIP_1) | instid1(VALU_DEP_2)
	v_fmaak_f64 v[16:17], v[10:11], v[22:23], 0x3ec71de3796cde01
	v_mul_f64_e32 v[22:23], v[10:11], v[10:11]
	v_fmaak_f64 v[16:17], v[10:11], v[16:17], 0xbf2a01a019e83e5c
	s_delay_alu instid0(VALU_DEP_1) | instskip(NEXT) | instid1(VALU_DEP_1)
	v_fmaak_f64 v[16:17], v[10:11], v[16:17], 0x3f81111111110bb3
	v_fmac_f64_e32 v[18:19], v[20:21], v[16:17]
	v_fmaak_f64 v[16:17], s[0:1], v[10:11], 0x3e21eeb69037ab78
	s_mov_b64 s[0:1], 0x7ff0000000000000
	s_delay_alu instid0(VALU_DEP_1) | instskip(SKIP_1) | instid1(VALU_DEP_2)
	v_fmaak_f64 v[16:17], v[10:11], v[16:17], 0xbe927e4fa17f65f6
	v_fma_f64 v[12:13], v[4:5], -v[6:7], v[12:13]
	v_fmaak_f64 v[16:17], v[10:11], v[16:17], 0x3efa01a019f4ec90
	s_delay_alu instid0(VALU_DEP_1) | instskip(SKIP_1) | instid1(VALU_DEP_2)
	v_fmaak_f64 v[16:17], v[10:11], v[16:17], 0xbf56c16c16c16967
	v_fma_f64 v[6:7], v[10:11], v[18:19], -v[6:7]
	v_fmaak_f64 v[10:11], v[10:11], v[16:17], 0x3fa5555555555555
	s_delay_alu instid0(VALU_DEP_1) | instskip(NEXT) | instid1(VALU_DEP_3)
	v_fmac_f64_e32 v[12:13], v[22:23], v[10:11]
	v_fmamk_f64 v[6:7], v[20:21], 0xbfc5555555555555, v[6:7]
	s_delay_alu instid0(VALU_DEP_1) | instskip(NEXT) | instid1(VALU_DEP_3)
	v_add_f64_e64 v[4:5], v[4:5], -v[6:7]
	v_add_f64_e32 v[6:7], v[14:15], v[12:13]
	s_delay_alu instid0(VALU_DEP_1) | instskip(SKIP_1) | instid1(VALU_DEP_2)
	v_cndmask_b32_e32 v7, v7, v5, vcc_lo
	v_mov_b32_e32 v5, 0x80
	v_bitop3_b32 v9, v7, 0x7ff00000, v9 bitop3:0x48
	s_delay_alu instid0(VALU_DEP_1)
	v_cmpx_ne_u64_e64 s[0:1], v[8:9]
	s_cbranch_execz .LBB58_25
; %bb.14:
	v_xor_b32_e32 v2, v2, v3
	s_mov_b64 s[0:1], 0x40ec000000000001
	s_delay_alu instid0(VALU_DEP_1) | instskip(SKIP_1) | instid1(VALU_DEP_2)
	v_bitop3_b32 v3, v7, v2, 0x80000000 bitop3:0x78
	v_cndmask_b32_e32 v2, v6, v4, vcc_lo
	v_and_b32_e32 v5, 0x7fffffff, v3
	s_delay_alu instid0(VALU_DEP_2) | instskip(NEXT) | instid1(VALU_DEP_1)
	v_mov_b32_e32 v4, v2
	v_cmp_gt_u64_e32 vcc_lo, s[0:1], v[4:5]
                                        ; implicit-def: $vgpr5
	s_and_saveexec_b32 s0, vcc_lo
	s_delay_alu instid0(SALU_CYCLE_1)
	s_xor_b32 s3, exec_lo, s0
	s_cbranch_execz .LBB58_22
; %bb.15:
	v_mov_b32_e32 v5, 0
	s_mov_b32 s4, exec_lo
	v_cmpx_ne_u64_e32 0, v[2:3]
	s_cbranch_execz .LBB58_21
; %bb.16:
	v_bfe_u32 v14, v3, 20, 11
	v_and_b32_e32 v5, 0xfffff, v3
	s_mov_b32 s5, 0
	s_delay_alu instid0(VALU_DEP_2) | instskip(SKIP_1) | instid1(VALU_DEP_3)
	v_sub_nc_u32_e64 v4, 0x3f0, v14 clamp
	v_cmp_eq_u32_e32 vcc_lo, 0, v14
	v_or_b32_e32 v6, 0x100000, v5
	s_delay_alu instid0(VALU_DEP_3) | instskip(SKIP_1) | instid1(VALU_DEP_2)
	v_cndmask_b32_e64 v15, v4, 0x3ef, vcc_lo
	v_mov_b32_e32 v4, v2
	v_dual_cndmask_b32 v5, v6, v5, vcc_lo :: v_dual_add_nc_u32 v7, 49, v15
	v_add_nc_u32_e32 v6, 50, v15
	s_delay_alu instid0(VALU_DEP_2) | instskip(NEXT) | instid1(VALU_DEP_3)
	v_lshrrev_b64 v[10:11], v15, v[4:5]
	v_lshlrev_b64_e64 v[12:13], v7, 1
	s_delay_alu instid0(VALU_DEP_3) | instskip(SKIP_1) | instid1(VALU_DEP_4)
	v_lshlrev_b64_e64 v[8:9], v6, -1
	v_mov_b32_e32 v6, 0
	v_and_b32_e32 v7, 0x40000, v11
	s_delay_alu instid0(VALU_DEP_3) | instskip(NEXT) | instid1(VALU_DEP_4)
	v_bfi_b32 v5, v9, 0, v5
	v_bfi_b32 v4, v8, 0, v2
	v_add_nc_u32_e32 v2, 0xfffffc11, v14
	s_delay_alu instid0(VALU_DEP_2) | instskip(SKIP_2) | instid1(VALU_DEP_4)
	v_cmp_eq_u64_e64 s1, v[4:5], v[12:13]
	v_mov_b32_e32 v5, s5
	v_cmp_eq_u64_e64 s0, 0, v[6:7]
	v_cndmask_b32_e64 v2, v2, 0xfffffc12, vcc_lo
	v_lshrrev_b32_e32 v7, 20, v11
	s_and_b32 s0, s0, s1
	s_delay_alu instid0(VALU_DEP_1) | instskip(SKIP_2) | instid1(VALU_DEP_2)
	v_add3_u32 v8, v2, v15, v7
	v_cndmask_b32_e64 v4, 0, 1, s0
	s_mov_b32 s0, exec_lo
                                        ; implicit-def: $vgpr2
	v_add_nc_u32_e32 v9, -1, v8
	s_delay_alu instid0(VALU_DEP_2) | instskip(NEXT) | instid1(VALU_DEP_1)
	v_sub_nc_u64_e32 v[4:5], v[10:11], v[4:5]
	v_and_b32_e32 v5, 0x3ffff, v5
	s_delay_alu instid0(VALU_DEP_1) | instskip(NEXT) | instid1(VALU_DEP_4)
	v_add_nc_u64_e32 v[4:5], v[4:5], v[10:11]
	v_cmpx_ne_u32_e32 0, v9
	s_xor_b32 s0, exec_lo, s0
; %bb.17:
	s_delay_alu instid0(VALU_DEP_2) | instskip(SKIP_1) | instid1(VALU_DEP_2)
	v_and_b32_e32 v7, 0x200000, v5
	v_bfe_u32 v2, v5, 21, 1
	v_cmp_eq_u64_e32 vcc_lo, 0, v[6:7]
	s_delay_alu instid0(VALU_DEP_2)
	v_lshrrev_b64 v[4:5], v2, v[4:5]
	v_cndmask_b32_e32 v2, v8, v9, vcc_lo
; %bb.18:
	s_and_not1_saveexec_b32 s0, s0
; %bb.19:
	s_delay_alu instid0(VALU_DEP_2)
	v_bfe_u32 v2, v5, 20, 1
; %bb.20:
	s_or_b32 exec_lo, exec_lo, s0
	v_dual_lshrrev_b32 v3, 24, v3 :: v_dual_lshrrev_b32 v4, 18, v5
	s_delay_alu instid0(VALU_DEP_2) | instskip(SKIP_1) | instid1(VALU_DEP_3)
	v_cmp_gt_i32_e32 vcc_lo, 32, v2
	v_dual_mov_b32 v5, 0 :: v_dual_min_i32 v6, 31, v2
	v_and_b32_e32 v3, 0x80, v3
	v_cmp_eq_u32_e64 s0, 0, v2
	v_cndmask_b32_e32 v4, 3, v4, vcc_lo
	s_delay_alu instid0(VALU_DEP_3) | instskip(NEXT) | instid1(VALU_DEP_2)
	v_lshl_or_b32 v3, v6, 2, v3
	v_cmp_eq_u64_e32 vcc_lo, 0, v[4:5]
	s_delay_alu instid0(VALU_DEP_2)
	v_and_or_b32 v2, v4, 3, v3
	s_and_b32 s0, s0, vcc_lo
	s_delay_alu instid0(VALU_DEP_1) | instid1(SALU_CYCLE_1)
	v_cndmask_b32_e64 v5, v2, 0, s0
.LBB58_21:
	s_or_b32 exec_lo, exec_lo, s4
                                        ; implicit-def: $vgpr2_vgpr3
.LBB58_22:
	s_and_not1_saveexec_b32 s0, s3
; %bb.23:
	v_lshrrev_b32_e32 v2, 24, v3
	s_delay_alu instid0(VALU_DEP_1)
	v_or_b32_e32 v5, 0x7f, v2
; %bb.24:
	s_or_b32 exec_lo, exec_lo, s0
.LBB58_25:
	s_delay_alu instid0(SALU_CYCLE_1)
	s_or_b32 exec_lo, exec_lo, s2
	v_add_nc_u64_e32 v[0:1], s[12:13], v[0:1]
	global_store_b8 v[0:1], v5, off
.LBB58_26:
	s_endpgm
	.section	.rodata,"a",@progbits
	.p2align	6, 0x0
	.amdhsa_kernel _Z11fill_kernelI18hipblaslt_bf8_fnuzZ21hipblaslt_init_deviceIS0_Ev8ABC_dims24hipblaslt_initializationbPT_mmmmmEUlmE2_EvS5_mmT0_
		.amdhsa_group_segment_fixed_size 0
		.amdhsa_private_segment_fixed_size 0
		.amdhsa_kernarg_size 312
		.amdhsa_user_sgpr_count 2
		.amdhsa_user_sgpr_dispatch_ptr 0
		.amdhsa_user_sgpr_queue_ptr 0
		.amdhsa_user_sgpr_kernarg_segment_ptr 1
		.amdhsa_user_sgpr_dispatch_id 0
		.amdhsa_user_sgpr_kernarg_preload_length 0
		.amdhsa_user_sgpr_kernarg_preload_offset 0
		.amdhsa_user_sgpr_private_segment_size 0
		.amdhsa_wavefront_size32 1
		.amdhsa_uses_dynamic_stack 0
		.amdhsa_enable_private_segment 0
		.amdhsa_system_sgpr_workgroup_id_x 1
		.amdhsa_system_sgpr_workgroup_id_y 0
		.amdhsa_system_sgpr_workgroup_id_z 0
		.amdhsa_system_sgpr_workgroup_info 0
		.amdhsa_system_vgpr_workitem_id 0
		.amdhsa_next_free_vgpr 34
		.amdhsa_next_free_sgpr 24
		.amdhsa_named_barrier_count 0
		.amdhsa_reserve_vcc 1
		.amdhsa_float_round_mode_32 0
		.amdhsa_float_round_mode_16_64 0
		.amdhsa_float_denorm_mode_32 3
		.amdhsa_float_denorm_mode_16_64 3
		.amdhsa_fp16_overflow 0
		.amdhsa_memory_ordered 1
		.amdhsa_forward_progress 1
		.amdhsa_inst_pref_size 26
		.amdhsa_round_robin_scheduling 0
		.amdhsa_exception_fp_ieee_invalid_op 0
		.amdhsa_exception_fp_denorm_src 0
		.amdhsa_exception_fp_ieee_div_zero 0
		.amdhsa_exception_fp_ieee_overflow 0
		.amdhsa_exception_fp_ieee_underflow 0
		.amdhsa_exception_fp_ieee_inexact 0
		.amdhsa_exception_int_div_zero 0
	.end_amdhsa_kernel
	.section	.text._Z11fill_kernelI18hipblaslt_bf8_fnuzZ21hipblaslt_init_deviceIS0_Ev8ABC_dims24hipblaslt_initializationbPT_mmmmmEUlmE2_EvS5_mmT0_,"axG",@progbits,_Z11fill_kernelI18hipblaslt_bf8_fnuzZ21hipblaslt_init_deviceIS0_Ev8ABC_dims24hipblaslt_initializationbPT_mmmmmEUlmE2_EvS5_mmT0_,comdat
.Lfunc_end58:
	.size	_Z11fill_kernelI18hipblaslt_bf8_fnuzZ21hipblaslt_init_deviceIS0_Ev8ABC_dims24hipblaslt_initializationbPT_mmmmmEUlmE2_EvS5_mmT0_, .Lfunc_end58-_Z11fill_kernelI18hipblaslt_bf8_fnuzZ21hipblaslt_init_deviceIS0_Ev8ABC_dims24hipblaslt_initializationbPT_mmmmmEUlmE2_EvS5_mmT0_
                                        ; -- End function
	.set _Z11fill_kernelI18hipblaslt_bf8_fnuzZ21hipblaslt_init_deviceIS0_Ev8ABC_dims24hipblaslt_initializationbPT_mmmmmEUlmE2_EvS5_mmT0_.num_vgpr, 34
	.set _Z11fill_kernelI18hipblaslt_bf8_fnuzZ21hipblaslt_init_deviceIS0_Ev8ABC_dims24hipblaslt_initializationbPT_mmmmmEUlmE2_EvS5_mmT0_.num_agpr, 0
	.set _Z11fill_kernelI18hipblaslt_bf8_fnuzZ21hipblaslt_init_deviceIS0_Ev8ABC_dims24hipblaslt_initializationbPT_mmmmmEUlmE2_EvS5_mmT0_.numbered_sgpr, 24
	.set _Z11fill_kernelI18hipblaslt_bf8_fnuzZ21hipblaslt_init_deviceIS0_Ev8ABC_dims24hipblaslt_initializationbPT_mmmmmEUlmE2_EvS5_mmT0_.num_named_barrier, 0
	.set _Z11fill_kernelI18hipblaslt_bf8_fnuzZ21hipblaslt_init_deviceIS0_Ev8ABC_dims24hipblaslt_initializationbPT_mmmmmEUlmE2_EvS5_mmT0_.private_seg_size, 0
	.set _Z11fill_kernelI18hipblaslt_bf8_fnuzZ21hipblaslt_init_deviceIS0_Ev8ABC_dims24hipblaslt_initializationbPT_mmmmmEUlmE2_EvS5_mmT0_.uses_vcc, 1
	.set _Z11fill_kernelI18hipblaslt_bf8_fnuzZ21hipblaslt_init_deviceIS0_Ev8ABC_dims24hipblaslt_initializationbPT_mmmmmEUlmE2_EvS5_mmT0_.uses_flat_scratch, 0
	.set _Z11fill_kernelI18hipblaslt_bf8_fnuzZ21hipblaslt_init_deviceIS0_Ev8ABC_dims24hipblaslt_initializationbPT_mmmmmEUlmE2_EvS5_mmT0_.has_dyn_sized_stack, 0
	.set _Z11fill_kernelI18hipblaslt_bf8_fnuzZ21hipblaslt_init_deviceIS0_Ev8ABC_dims24hipblaslt_initializationbPT_mmmmmEUlmE2_EvS5_mmT0_.has_recursion, 0
	.set _Z11fill_kernelI18hipblaslt_bf8_fnuzZ21hipblaslt_init_deviceIS0_Ev8ABC_dims24hipblaslt_initializationbPT_mmmmmEUlmE2_EvS5_mmT0_.has_indirect_call, 0
	.section	.AMDGPU.csdata,"",@progbits
; Kernel info:
; codeLenInByte = 3328
; TotalNumSgprs: 26
; NumVgprs: 34
; ScratchSize: 0
; MemoryBound: 0
; FloatMode: 240
; IeeeMode: 1
; LDSByteSize: 0 bytes/workgroup (compile time only)
; SGPRBlocks: 0
; VGPRBlocks: 2
; NumSGPRsForWavesPerEU: 26
; NumVGPRsForWavesPerEU: 34
; NamedBarCnt: 0
; Occupancy: 16
; WaveLimiterHint : 0
; COMPUTE_PGM_RSRC2:SCRATCH_EN: 0
; COMPUTE_PGM_RSRC2:USER_SGPR: 2
; COMPUTE_PGM_RSRC2:TRAP_HANDLER: 0
; COMPUTE_PGM_RSRC2:TGID_X_EN: 1
; COMPUTE_PGM_RSRC2:TGID_Y_EN: 0
; COMPUTE_PGM_RSRC2:TGID_Z_EN: 0
; COMPUTE_PGM_RSRC2:TIDIG_COMP_CNT: 0
	.section	.text._Z11fill_kernelI18hipblaslt_bf8_fnuzZ21hipblaslt_init_deviceIS0_Ev8ABC_dims24hipblaslt_initializationbPT_mmmmmEUlmE3_EvS5_mmT0_,"axG",@progbits,_Z11fill_kernelI18hipblaslt_bf8_fnuzZ21hipblaslt_init_deviceIS0_Ev8ABC_dims24hipblaslt_initializationbPT_mmmmmEUlmE3_EvS5_mmT0_,comdat
	.protected	_Z11fill_kernelI18hipblaslt_bf8_fnuzZ21hipblaslt_init_deviceIS0_Ev8ABC_dims24hipblaslt_initializationbPT_mmmmmEUlmE3_EvS5_mmT0_ ; -- Begin function _Z11fill_kernelI18hipblaslt_bf8_fnuzZ21hipblaslt_init_deviceIS0_Ev8ABC_dims24hipblaslt_initializationbPT_mmmmmEUlmE3_EvS5_mmT0_
	.globl	_Z11fill_kernelI18hipblaslt_bf8_fnuzZ21hipblaslt_init_deviceIS0_Ev8ABC_dims24hipblaslt_initializationbPT_mmmmmEUlmE3_EvS5_mmT0_
	.p2align	8
	.type	_Z11fill_kernelI18hipblaslt_bf8_fnuzZ21hipblaslt_init_deviceIS0_Ev8ABC_dims24hipblaslt_initializationbPT_mmmmmEUlmE3_EvS5_mmT0_,@function
_Z11fill_kernelI18hipblaslt_bf8_fnuzZ21hipblaslt_init_deviceIS0_Ev8ABC_dims24hipblaslt_initializationbPT_mmmmmEUlmE3_EvS5_mmT0_: ; @_Z11fill_kernelI18hipblaslt_bf8_fnuzZ21hipblaslt_init_deviceIS0_Ev8ABC_dims24hipblaslt_initializationbPT_mmmmmEUlmE3_EvS5_mmT0_
; %bb.0:
	s_clause 0x1
	s_load_b32 s2, s[0:1], 0x44
	s_load_b128 s[12:15], s[0:1], 0x0
	s_bfe_u32 s3, ttmp6, 0x4000c
	s_and_b32 s4, ttmp6, 15
	s_add_co_i32 s3, s3, 1
	s_getreg_b32 s5, hwreg(HW_REG_IB_STS2, 6, 4)
	s_mul_i32 s3, ttmp9, s3
	v_mov_b32_e32 v3, 0
	s_add_co_i32 s4, s4, s3
	s_wait_kmcnt 0x0
	s_and_b32 s2, s2, 0xffff
	s_cmp_eq_u32 s5, 0
	s_cselect_b32 s3, ttmp9, s4
	s_delay_alu instid0(SALU_CYCLE_1) | instskip(SKIP_1) | instid1(VALU_DEP_1)
	v_mad_u32 v2, s3, s2, v0
	s_mov_b32 s2, exec_lo
	v_cmpx_gt_u64_e64 s[14:15], v[2:3]
	s_cbranch_execz .LBB59_26
; %bb.1:
	s_clause 0x1
	s_load_b64 s[2:3], s[0:1], 0x10
	s_load_b256 s[4:11], s[0:1], 0x18
	s_wait_xcnt 0x0
	s_mov_b32 s0, exec_lo
	v_mov_b32_e32 v4, v3
	s_wait_kmcnt 0x0
	v_add_nc_u64_e32 v[0:1], s[2:3], v[2:3]
                                        ; implicit-def: $vgpr2_vgpr3
	s_delay_alu instid0(VALU_DEP_1) | instskip(NEXT) | instid1(VALU_DEP_1)
	v_or_b32_e32 v5, s9, v1
	v_cmpx_ne_u64_e32 0, v[4:5]
	s_xor_b32 s1, exec_lo, s0
	s_cbranch_execz .LBB59_3
; %bb.2:
	s_cvt_f32_u32 s0, s8
	s_cvt_f32_u32 s2, s9
	s_sub_nc_u64 s[14:15], 0, s[8:9]
	s_mov_b32 s19, 0
	v_dual_mov_b32 v3, 0 :: v_dual_mov_b32 v2, v0
	s_fmamk_f32 s0, s2, 0x4f800000, s0
	s_delay_alu instid0(SALU_CYCLE_3) | instskip(NEXT) | instid1(TRANS32_DEP_1)
	v_s_rcp_f32 s0, s0
	s_mul_f32 s0, s0, 0x5f7ffffc
	s_delay_alu instid0(SALU_CYCLE_3) | instskip(NEXT) | instid1(SALU_CYCLE_3)
	s_mul_f32 s2, s0, 0x2f800000
	s_trunc_f32 s2, s2
	s_delay_alu instid0(SALU_CYCLE_3) | instskip(SKIP_1) | instid1(SALU_CYCLE_2)
	s_fmamk_f32 s0, s2, 0xcf800000, s0
	s_cvt_u32_f32 s3, s2
	s_cvt_u32_f32 s2, s0
	s_delay_alu instid0(SALU_CYCLE_3) | instskip(NEXT) | instid1(SALU_CYCLE_1)
	s_mul_u64 s[16:17], s[14:15], s[2:3]
	s_mul_hi_u32 s21, s2, s17
	s_mul_i32 s20, s2, s17
	s_mul_hi_u32 s18, s2, s16
	s_mul_i32 s22, s3, s16
	s_add_nc_u64 s[20:21], s[18:19], s[20:21]
	s_mul_hi_u32 s0, s3, s16
	s_mul_hi_u32 s23, s3, s17
	s_mul_i32 s16, s3, s17
	s_add_co_u32 s17, s20, s22
	s_add_co_ci_u32 s18, s21, s0
	s_add_co_ci_u32 s17, s23, 0
	s_delay_alu instid0(SALU_CYCLE_1) | instskip(NEXT) | instid1(SALU_CYCLE_1)
	s_add_nc_u64 s[16:17], s[18:19], s[16:17]
	s_add_co_u32 s2, s2, s16
	s_cselect_b32 s0, -1, 0
	s_delay_alu instid0(SALU_CYCLE_1) | instskip(SKIP_1) | instid1(SALU_CYCLE_1)
	s_cmp_lg_u32 s0, 0
	s_add_co_ci_u32 s3, s3, s17
	s_mul_u64 s[14:15], s[14:15], s[2:3]
	s_delay_alu instid0(SALU_CYCLE_1)
	s_mul_hi_u32 s17, s2, s15
	s_mul_i32 s16, s2, s15
	s_mul_hi_u32 s18, s2, s14
	s_mul_i32 s20, s3, s14
	s_add_nc_u64 s[16:17], s[18:19], s[16:17]
	s_mul_hi_u32 s0, s3, s14
	s_mul_hi_u32 s21, s3, s15
	s_mul_i32 s14, s3, s15
	s_add_co_u32 s15, s16, s20
	s_add_co_ci_u32 s18, s17, s0
	s_add_co_ci_u32 s15, s21, 0
	s_delay_alu instid0(SALU_CYCLE_1) | instskip(NEXT) | instid1(SALU_CYCLE_1)
	s_add_nc_u64 s[14:15], s[18:19], s[14:15]
	s_add_co_u32 s0, s2, s14
	s_cselect_b32 s2, -1, 0
	s_delay_alu instid0(SALU_CYCLE_1)
	s_cmp_lg_u32 s2, 0
	s_add_co_ci_u32 s18, s3, s15
	s_mov_b64 s[2:3], 0xffffffff
	v_mul_u64_e32 v[4:5], s[18:19], v[2:3]
	v_mul_hi_u32 v2, v0, s0
	s_and_b64 s[2:3], s[0:1], s[2:3]
	s_delay_alu instid0(VALU_DEP_1) | instskip(SKIP_1) | instid1(VALU_DEP_1)
	v_add_nc_u64_e32 v[4:5], v[2:3], v[4:5]
	v_mov_b32_e32 v2, v1
	v_mul_u64_e32 v[6:7], s[2:3], v[2:3]
	v_mul_u64_e32 v[8:9], s[18:19], v[2:3]
	s_delay_alu instid0(VALU_DEP_2) | instskip(NEXT) | instid1(VALU_DEP_3)
	v_add_co_u32 v2, vcc_lo, v4, v6
	v_add_co_ci_u32_e32 v2, vcc_lo, v5, v7, vcc_lo
	s_delay_alu instid0(VALU_DEP_3) | instskip(NEXT) | instid1(VALU_DEP_1)
	v_add_co_ci_u32_e32 v9, vcc_lo, 0, v9, vcc_lo
	v_add_nc_u64_e32 v[2:3], v[2:3], v[8:9]
	s_delay_alu instid0(VALU_DEP_1) | instskip(NEXT) | instid1(VALU_DEP_1)
	v_mul_u64_e32 v[4:5], s[8:9], v[2:3]
	v_sub_nc_u32_e32 v6, v1, v5
	s_delay_alu instid0(VALU_DEP_2) | instskip(NEXT) | instid1(VALU_DEP_1)
	v_sub_co_u32 v4, vcc_lo, v0, v4
	v_sub_co_ci_u32_e64 v11, null, v1, v5, vcc_lo
	s_delay_alu instid0(VALU_DEP_3) | instskip(NEXT) | instid1(VALU_DEP_3)
	v_subrev_co_ci_u32_e64 v6, null, s9, v6, vcc_lo
	v_sub_co_u32 v8, s0, v4, s8
	v_cmp_le_u32_e32 vcc_lo, s8, v4
	s_delay_alu instid0(VALU_DEP_3) | instskip(NEXT) | instid1(VALU_DEP_3)
	v_subrev_co_ci_u32_e64 v9, null, 0, v6, s0
	v_cmp_le_u32_e64 s0, s8, v8
	v_add_nc_u64_e32 v[6:7], 2, v[2:3]
	v_cndmask_b32_e64 v12, 0, -1, vcc_lo
	s_delay_alu instid0(VALU_DEP_4) | instskip(SKIP_3) | instid1(VALU_DEP_1)
	v_cmp_eq_u32_e32 vcc_lo, s9, v9
	v_add_nc_u64_e32 v[4:5], 1, v[2:3]
	v_cndmask_b32_e64 v8, 0, -1, s0
	v_cmp_le_u32_e64 s0, s9, v9
	v_cndmask_b32_e64 v10, 0, -1, s0
	v_cmp_eq_u32_e64 s0, s9, v11
	s_delay_alu instid0(VALU_DEP_2) | instskip(SKIP_2) | instid1(VALU_DEP_3)
	v_cndmask_b32_e32 v8, v10, v8, vcc_lo
	v_cmp_le_u32_e32 vcc_lo, s9, v11
	v_cndmask_b32_e64 v9, 0, -1, vcc_lo
	v_cmp_ne_u32_e32 vcc_lo, 0, v8
	s_delay_alu instid0(VALU_DEP_2) | instskip(SKIP_1) | instid1(VALU_DEP_2)
	v_dual_cndmask_b32 v8, v9, v12, s0 :: v_dual_cndmask_b32 v4, v4, v6, vcc_lo
	v_cndmask_b32_e32 v5, v5, v7, vcc_lo
	v_cmp_ne_u32_e32 vcc_lo, 0, v8
	s_delay_alu instid0(VALU_DEP_2)
	v_dual_cndmask_b32 v3, v3, v5 :: v_dual_cndmask_b32 v2, v2, v4
.LBB59_3:
	s_and_not1_saveexec_b32 s0, s1
	s_cbranch_execz .LBB59_5
; %bb.4:
	v_cvt_f32_u32_e32 v2, s8
	s_sub_co_i32 s1, 0, s8
	s_delay_alu instid0(VALU_DEP_1) | instskip(SKIP_1) | instid1(TRANS32_DEP_1)
	v_rcp_iflag_f32_e32 v2, v2
	v_nop
	v_mul_f32_e32 v2, 0x4f7ffffe, v2
	s_delay_alu instid0(VALU_DEP_1) | instskip(NEXT) | instid1(VALU_DEP_1)
	v_cvt_u32_f32_e32 v2, v2
	v_mul_lo_u32 v3, s1, v2
	s_delay_alu instid0(VALU_DEP_1) | instskip(NEXT) | instid1(VALU_DEP_1)
	v_mul_hi_u32 v3, v2, v3
	v_add_nc_u32_e32 v2, v2, v3
	s_delay_alu instid0(VALU_DEP_1) | instskip(NEXT) | instid1(VALU_DEP_1)
	v_mul_hi_u32 v2, v0, v2
	v_mul_lo_u32 v3, v2, s8
	s_delay_alu instid0(VALU_DEP_1) | instskip(NEXT) | instid1(VALU_DEP_1)
	v_dual_add_nc_u32 v4, 1, v2 :: v_dual_sub_nc_u32 v3, v0, v3
	v_subrev_nc_u32_e32 v5, s8, v3
	v_cmp_le_u32_e32 vcc_lo, s8, v3
	s_delay_alu instid0(VALU_DEP_2) | instskip(NEXT) | instid1(VALU_DEP_1)
	v_dual_cndmask_b32 v3, v3, v5 :: v_dual_cndmask_b32 v2, v2, v4
	v_cmp_le_u32_e32 vcc_lo, s8, v3
	s_delay_alu instid0(VALU_DEP_2) | instskip(NEXT) | instid1(VALU_DEP_1)
	v_dual_mov_b32 v3, 0 :: v_dual_add_nc_u32 v4, 1, v2
	v_cndmask_b32_e32 v2, v2, v4, vcc_lo
.LBB59_5:
	s_or_b32 exec_lo, exec_lo, s0
	s_delay_alu instid0(VALU_DEP_1) | instskip(SKIP_2) | instid1(VALU_DEP_2)
	v_mul_u64_e32 v[4:5], s[8:9], v[2:3]
                                        ; implicit-def: $vgpr8_vgpr9
	s_mov_b32 s0, exec_lo
	v_mov_b32_e32 v6, 0
	v_sub_nc_u64_e32 v[4:5], v[0:1], v[4:5]
	s_delay_alu instid0(VALU_DEP_1) | instskip(NEXT) | instid1(VALU_DEP_1)
	v_or_b32_e32 v7, s11, v5
	v_cmpx_ne_u64_e32 0, v[6:7]
	s_xor_b32 s1, exec_lo, s0
	s_cbranch_execz .LBB59_7
; %bb.6:
	s_cvt_f32_u32 s0, s10
	s_cvt_f32_u32 s2, s11
	s_sub_nc_u64 s[8:9], 0, s[10:11]
	s_mov_b32 s17, 0
	v_dual_mov_b32 v8, v4 :: v_dual_mov_b32 v9, v6
	s_fmamk_f32 s0, s2, 0x4f800000, s0
	v_dual_mov_b32 v10, v5 :: v_dual_mov_b32 v11, v6
	v_dual_mov_b32 v15, v6 :: v_dual_mov_b32 v7, v6
	s_delay_alu instid0(SALU_CYCLE_1) | instskip(NEXT) | instid1(TRANS32_DEP_1)
	v_s_rcp_f32 s0, s0
	s_mul_f32 s0, s0, 0x5f7ffffc
	s_delay_alu instid0(SALU_CYCLE_3) | instskip(NEXT) | instid1(SALU_CYCLE_3)
	s_mul_f32 s2, s0, 0x2f800000
	s_trunc_f32 s2, s2
	s_delay_alu instid0(SALU_CYCLE_3) | instskip(SKIP_1) | instid1(SALU_CYCLE_2)
	s_fmamk_f32 s0, s2, 0xcf800000, s0
	s_cvt_u32_f32 s3, s2
	s_cvt_u32_f32 s2, s0
	s_delay_alu instid0(SALU_CYCLE_3) | instskip(NEXT) | instid1(SALU_CYCLE_1)
	s_mul_u64 s[14:15], s[8:9], s[2:3]
	s_mul_hi_u32 s19, s2, s15
	s_mul_i32 s18, s2, s15
	s_mul_hi_u32 s16, s2, s14
	s_mul_i32 s20, s3, s14
	s_add_nc_u64 s[18:19], s[16:17], s[18:19]
	s_mul_hi_u32 s0, s3, s14
	s_mul_hi_u32 s21, s3, s15
	s_mul_i32 s14, s3, s15
	s_add_co_u32 s15, s18, s20
	s_add_co_ci_u32 s16, s19, s0
	s_add_co_ci_u32 s15, s21, 0
	s_delay_alu instid0(SALU_CYCLE_1) | instskip(NEXT) | instid1(SALU_CYCLE_1)
	s_add_nc_u64 s[14:15], s[16:17], s[14:15]
	s_add_co_u32 s2, s2, s14
	s_cselect_b32 s0, -1, 0
	s_delay_alu instid0(SALU_CYCLE_1) | instskip(SKIP_1) | instid1(SALU_CYCLE_1)
	s_cmp_lg_u32 s0, 0
	s_add_co_ci_u32 s3, s3, s15
	s_mul_u64 s[8:9], s[8:9], s[2:3]
	s_delay_alu instid0(SALU_CYCLE_1)
	s_mul_hi_u32 s15, s2, s9
	s_mul_i32 s14, s2, s9
	s_mul_hi_u32 s16, s2, s8
	s_mul_i32 s18, s3, s8
	s_add_nc_u64 s[14:15], s[16:17], s[14:15]
	s_mul_hi_u32 s0, s3, s8
	s_mul_hi_u32 s19, s3, s9
	s_mul_i32 s8, s3, s9
	s_add_co_u32 s9, s14, s18
	s_add_co_ci_u32 s16, s15, s0
	s_add_co_ci_u32 s9, s19, 0
	s_delay_alu instid0(SALU_CYCLE_1) | instskip(NEXT) | instid1(SALU_CYCLE_1)
	s_add_nc_u64 s[8:9], s[16:17], s[8:9]
	s_add_co_u32 s0, s2, s8
	s_cselect_b32 s2, -1, 0
	v_nop
	v_mul_hi_u32 v14, v4, s0
	s_cmp_lg_u32 s2, 0
	s_add_co_ci_u32 s16, s3, s9
	s_mov_b64 s[2:3], 0xffffffff
	v_mul_u64_e32 v[8:9], s[16:17], v[8:9]
	s_and_b64 s[2:3], s[0:1], s[2:3]
	s_delay_alu instid0(SALU_CYCLE_1) | instskip(SKIP_1) | instid1(VALU_DEP_3)
	v_mul_u64_e32 v[12:13], s[2:3], v[10:11]
	v_mul_u64_e32 v[10:11], s[16:17], v[10:11]
	v_add_nc_u64_e32 v[8:9], v[14:15], v[8:9]
	s_delay_alu instid0(VALU_DEP_1) | instskip(NEXT) | instid1(VALU_DEP_2)
	v_add_co_u32 v6, vcc_lo, v8, v12
	v_add_co_ci_u32_e32 v6, vcc_lo, v9, v13, vcc_lo
	s_delay_alu instid0(VALU_DEP_4) | instskip(NEXT) | instid1(VALU_DEP_1)
	v_add_co_ci_u32_e32 v11, vcc_lo, 0, v11, vcc_lo
	v_add_nc_u64_e32 v[6:7], v[6:7], v[10:11]
	s_delay_alu instid0(VALU_DEP_1) | instskip(NEXT) | instid1(VALU_DEP_1)
	v_mul_u64_e32 v[8:9], s[10:11], v[6:7]
	v_sub_nc_u32_e32 v10, v5, v9
	s_delay_alu instid0(VALU_DEP_2) | instskip(NEXT) | instid1(VALU_DEP_1)
	v_sub_co_u32 v8, vcc_lo, v4, v8
	v_sub_co_ci_u32_e64 v15, null, v5, v9, vcc_lo
	s_delay_alu instid0(VALU_DEP_3) | instskip(NEXT) | instid1(VALU_DEP_3)
	v_subrev_co_ci_u32_e64 v10, null, s11, v10, vcc_lo
	v_sub_co_u32 v12, s0, v8, s10
	v_cmp_le_u32_e32 vcc_lo, s10, v8
	s_delay_alu instid0(VALU_DEP_3) | instskip(NEXT) | instid1(VALU_DEP_3)
	v_subrev_co_ci_u32_e64 v13, null, 0, v10, s0
	v_cmp_le_u32_e64 s0, s10, v12
	v_add_nc_u64_e32 v[10:11], 2, v[6:7]
	v_cndmask_b32_e64 v16, 0, -1, vcc_lo
	s_delay_alu instid0(VALU_DEP_4) | instskip(SKIP_3) | instid1(VALU_DEP_1)
	v_cmp_eq_u32_e32 vcc_lo, s11, v13
	v_add_nc_u64_e32 v[8:9], 1, v[6:7]
	v_cndmask_b32_e64 v12, 0, -1, s0
	v_cmp_le_u32_e64 s0, s11, v13
	v_cndmask_b32_e64 v14, 0, -1, s0
	v_cmp_eq_u32_e64 s0, s11, v15
	s_delay_alu instid0(VALU_DEP_2) | instskip(SKIP_2) | instid1(VALU_DEP_3)
	v_cndmask_b32_e32 v12, v14, v12, vcc_lo
	v_cmp_le_u32_e32 vcc_lo, s11, v15
	v_cndmask_b32_e64 v13, 0, -1, vcc_lo
	v_cmp_ne_u32_e32 vcc_lo, 0, v12
	s_delay_alu instid0(VALU_DEP_2) | instskip(SKIP_1) | instid1(VALU_DEP_2)
	v_dual_cndmask_b32 v12, v13, v16, s0 :: v_dual_cndmask_b32 v8, v8, v10, vcc_lo
	v_cndmask_b32_e32 v9, v9, v11, vcc_lo
	v_cmp_ne_u32_e32 vcc_lo, 0, v12
	s_delay_alu instid0(VALU_DEP_2)
	v_dual_cndmask_b32 v8, v6, v8 :: v_dual_cndmask_b32 v9, v7, v9
.LBB59_7:
	s_and_not1_saveexec_b32 s0, s1
	s_cbranch_execz .LBB59_9
; %bb.8:
	v_cvt_f32_u32_e32 v6, s10
	s_sub_co_i32 s1, 0, s10
	s_delay_alu instid0(VALU_DEP_1) | instskip(SKIP_1) | instid1(TRANS32_DEP_1)
	v_rcp_iflag_f32_e32 v6, v6
	v_nop
	v_mul_f32_e32 v6, 0x4f7ffffe, v6
	s_delay_alu instid0(VALU_DEP_1) | instskip(NEXT) | instid1(VALU_DEP_1)
	v_cvt_u32_f32_e32 v6, v6
	v_mul_lo_u32 v7, s1, v6
	s_delay_alu instid0(VALU_DEP_1) | instskip(NEXT) | instid1(VALU_DEP_1)
	v_mul_hi_u32 v7, v6, v7
	v_add_nc_u32_e32 v6, v6, v7
	s_delay_alu instid0(VALU_DEP_1) | instskip(NEXT) | instid1(VALU_DEP_1)
	v_mul_hi_u32 v6, v4, v6
	v_mul_lo_u32 v7, v6, s10
	s_delay_alu instid0(VALU_DEP_1) | instskip(NEXT) | instid1(VALU_DEP_1)
	v_dual_add_nc_u32 v8, 1, v6 :: v_dual_sub_nc_u32 v7, v4, v7
	v_subrev_nc_u32_e32 v9, s10, v7
	v_cmp_le_u32_e32 vcc_lo, s10, v7
	s_delay_alu instid0(VALU_DEP_2) | instskip(NEXT) | instid1(VALU_DEP_4)
	v_dual_cndmask_b32 v7, v7, v9, vcc_lo :: v_dual_mov_b32 v9, 0
	v_cndmask_b32_e32 v6, v6, v8, vcc_lo
	s_delay_alu instid0(VALU_DEP_2) | instskip(NEXT) | instid1(VALU_DEP_2)
	v_cmp_le_u32_e32 vcc_lo, s10, v7
	v_add_nc_u32_e32 v8, 1, v6
	s_delay_alu instid0(VALU_DEP_1)
	v_cndmask_b32_e32 v8, v6, v8, vcc_lo
.LBB59_9:
	s_or_b32 exec_lo, exec_lo, s0
	s_delay_alu instid0(VALU_DEP_1) | instskip(SKIP_1) | instid1(VALU_DEP_1)
	v_mul_u64_e32 v[6:7], s[10:11], v[8:9]
	v_mad_nc_u64_u32 v[8:9], v2, s6, v[8:9]
	v_mad_u32 v3, v3, s6, v9
	s_delay_alu instid0(VALU_DEP_1) | instskip(NEXT) | instid1(VALU_DEP_4)
	v_mad_u32 v2, v2, s7, v3
	v_sub_nc_u64_e32 v[4:5], v[4:5], v[6:7]
	s_delay_alu instid0(VALU_DEP_1) | instskip(NEXT) | instid1(VALU_DEP_1)
	v_mad_nc_u64_u32 v[4:5], v8, s4, v[4:5]
	v_mad_u32 v2, v2, s4, v5
	s_delay_alu instid0(VALU_DEP_2) | instskip(NEXT) | instid1(VALU_DEP_2)
	v_cvt_f64_u32_e32 v[6:7], v4
	v_mad_u32 v5, v8, s5, v2
                                        ; implicit-def: $vgpr8
	s_delay_alu instid0(VALU_DEP_1) | instskip(SKIP_1) | instid1(VALU_DEP_2)
	v_cvt_f64_u32_e32 v[2:3], v5
	v_cmp_lt_u64_e32 vcc_lo, 0x3fffffff, v[4:5]
                                        ; implicit-def: $vgpr4_vgpr5
	v_ldexp_f64 v[2:3], v[2:3], 32
	s_delay_alu instid0(VALU_DEP_1) | instskip(SKIP_1) | instid1(SALU_CYCLE_1)
	v_add_f64_e32 v[2:3], v[2:3], v[6:7]
                                        ; implicit-def: $vgpr6_vgpr7
	s_and_saveexec_b32 s0, vcc_lo
	s_xor_b32 s0, exec_lo, s0
	s_cbranch_execz .LBB59_11
; %bb.10:
	s_delay_alu instid0(VALU_DEP_1) | instskip(SKIP_3) | instid1(VALU_DEP_3)
	v_trig_preop_f64 v[4:5], v[2:3], 0
	v_trig_preop_f64 v[6:7], v[2:3], 1
	;; [unrolled: 1-line block ×3, first 2 shown]
	s_mov_b64 s[2:3], 0x3ff921fb54442d18
	v_dual_mul_f64 v[8:9], v[4:5], v[2:3] :: v_dual_mov_b32 v24, 0
	s_delay_alu instid0(VALU_DEP_3) | instskip(NEXT) | instid1(VALU_DEP_3)
	v_mul_f64_e32 v[10:11], v[6:7], v[2:3]
	v_mul_f64_e32 v[22:23], v[16:17], v[2:3]
	s_delay_alu instid0(VALU_DEP_3) | instskip(NEXT) | instid1(VALU_DEP_3)
	v_fma_f64 v[4:5], v[4:5], v[2:3], -v[8:9]
	v_fma_f64 v[6:7], v[6:7], v[2:3], -v[10:11]
	s_delay_alu instid0(VALU_DEP_3) | instskip(NEXT) | instid1(VALU_DEP_3)
	v_fma_f64 v[2:3], v[16:17], v[2:3], -v[22:23]
	v_add_f64_e32 v[12:13], v[10:11], v[4:5]
	s_delay_alu instid0(VALU_DEP_1) | instskip(SKIP_1) | instid1(VALU_DEP_2)
	v_add_f64_e64 v[14:15], v[12:13], -v[10:11]
	v_add_f64_e32 v[20:21], v[8:9], v[12:13]
	v_add_f64_e64 v[18:19], v[12:13], -v[14:15]
	v_add_f64_e64 v[4:5], v[4:5], -v[14:15]
	s_delay_alu instid0(VALU_DEP_3) | instskip(NEXT) | instid1(VALU_DEP_3)
	v_ldexp_f64 v[14:15], v[20:21], -2
	v_add_f64_e64 v[10:11], v[10:11], -v[18:19]
	v_add_f64_e32 v[18:19], v[22:23], v[6:7]
	s_delay_alu instid0(VALU_DEP_3) | instskip(NEXT) | instid1(VALU_DEP_3)
	v_cmp_neq_f64_e64 vcc_lo, 0x7ff00000, |v[14:15]|
	v_add_f64_e32 v[4:5], v[4:5], v[10:11]
	v_fract_f64_e32 v[10:11], v[14:15]
	s_delay_alu instid0(VALU_DEP_1) | instskip(NEXT) | instid1(VALU_DEP_1)
	v_ldexp_f64 v[10:11], v[10:11], 2
	v_dual_add_f64 v[8:9], v[20:21], -v[8:9] :: v_dual_cndmask_b32 v10, 0, v10, vcc_lo
	s_delay_alu instid0(VALU_DEP_1) | instskip(SKIP_1) | instid1(VALU_DEP_1)
	v_dual_add_f64 v[8:9], v[12:13], -v[8:9] :: v_dual_cndmask_b32 v11, 0, v11, vcc_lo
	v_add_f64_e32 v[12:13], v[18:19], v[4:5]
	v_add_f64_e32 v[14:15], v[8:9], v[12:13]
	v_add_f64_e64 v[26:27], v[12:13], -v[18:19]
	s_delay_alu instid0(VALU_DEP_2) | instskip(NEXT) | instid1(VALU_DEP_2)
	v_add_f64_e32 v[20:21], v[14:15], v[10:11]
	v_add_f64_e64 v[32:33], v[12:13], -v[26:27]
	v_add_f64_e64 v[4:5], v[4:5], -v[26:27]
	;; [unrolled: 1-line block ×3, first 2 shown]
	s_delay_alu instid0(VALU_DEP_4) | instskip(SKIP_1) | instid1(VALU_DEP_3)
	v_cmp_gt_f64_e32 vcc_lo, 0, v[20:21]
	v_add_f64_e64 v[20:21], v[18:19], -v[22:23]
	v_add_f64_e64 v[8:9], v[12:13], -v[8:9]
	v_cndmask_b32_e64 v25, 0, 0x40100000, vcc_lo
	s_delay_alu instid0(VALU_DEP_3) | instskip(SKIP_2) | instid1(VALU_DEP_4)
	v_add_f64_e64 v[30:31], v[18:19], -v[20:21]
	v_add_f64_e64 v[6:7], v[6:7], -v[20:21]
	;; [unrolled: 1-line block ×3, first 2 shown]
	v_add_f64_e32 v[10:11], v[10:11], v[24:25]
	s_delay_alu instid0(VALU_DEP_4) | instskip(NEXT) | instid1(VALU_DEP_3)
	v_add_f64_e64 v[20:21], v[22:23], -v[30:31]
	v_add_f64_e32 v[4:5], v[4:5], v[18:19]
	s_delay_alu instid0(VALU_DEP_3) | instskip(NEXT) | instid1(VALU_DEP_3)
	v_add_f64_e32 v[28:29], v[14:15], v[10:11]
	v_add_f64_e32 v[6:7], v[6:7], v[20:21]
	s_delay_alu instid0(VALU_DEP_2) | instskip(NEXT) | instid1(VALU_DEP_2)
	v_cvt_i32_f64_e32 v25, v[28:29]
	v_add_f64_e32 v[4:5], v[6:7], v[4:5]
	s_delay_alu instid0(VALU_DEP_2) | instskip(NEXT) | instid1(VALU_DEP_2)
	v_cvt_f64_i32_e32 v[26:27], v25
	v_add_f64_e32 v[2:3], v[2:3], v[4:5]
	s_delay_alu instid0(VALU_DEP_2) | instskip(NEXT) | instid1(VALU_DEP_2)
	v_add_f64_e64 v[10:11], v[10:11], -v[26:27]
	v_add_f64_e32 v[2:3], v[8:9], v[2:3]
	s_delay_alu instid0(VALU_DEP_2) | instskip(NEXT) | instid1(VALU_DEP_1)
	v_add_f64_e32 v[6:7], v[14:15], v[10:11]
	v_add_f64_e64 v[4:5], v[6:7], -v[10:11]
	v_cmp_le_f64_e32 vcc_lo, 0.5, v[6:7]
	s_delay_alu instid0(VALU_DEP_2) | instskip(SKIP_2) | instid1(VALU_DEP_3)
	v_add_f64_e64 v[4:5], v[14:15], -v[4:5]
	v_add_co_ci_u32_e64 v8, null, 0, v25, vcc_lo
	v_cndmask_b32_e64 v25, 0, 0x3ff00000, vcc_lo
	v_add_f64_e32 v[2:3], v[2:3], v[4:5]
	s_delay_alu instid0(VALU_DEP_2) | instskip(NEXT) | instid1(VALU_DEP_1)
	v_add_f64_e64 v[4:5], v[6:7], -v[24:25]
	v_add_f64_e32 v[6:7], v[4:5], v[2:3]
	s_delay_alu instid0(VALU_DEP_1) | instskip(SKIP_1) | instid1(VALU_DEP_2)
	v_mul_f64_e32 v[10:11], 0x3ff921fb54442d18, v[6:7]
	v_add_f64_e64 v[4:5], v[6:7], -v[4:5]
	v_fma_f64 v[12:13], v[6:7], s[2:3], -v[10:11]
	s_delay_alu instid0(VALU_DEP_2) | instskip(NEXT) | instid1(VALU_DEP_2)
	v_add_f64_e64 v[2:3], v[2:3], -v[4:5]
	v_fmamk_f64 v[6:7], v[6:7], 0x3c91a62633145c07, v[12:13]
	s_delay_alu instid0(VALU_DEP_1) | instskip(NEXT) | instid1(VALU_DEP_1)
	v_fmac_f64_e32 v[6:7], 0x3ff921fb54442d18, v[2:3]
	v_add_f64_e32 v[4:5], v[10:11], v[6:7]
	s_delay_alu instid0(VALU_DEP_1) | instskip(NEXT) | instid1(VALU_DEP_1)
	v_add_f64_e64 v[2:3], v[4:5], -v[10:11]
	v_add_f64_e64 v[6:7], v[6:7], -v[2:3]
                                        ; implicit-def: $vgpr2_vgpr3
.LBB59_11:
	s_and_not1_saveexec_b32 s0, s0
	s_cbranch_execz .LBB59_13
; %bb.12:
	s_delay_alu instid0(VALU_DEP_1) | instskip(NEXT) | instid1(VALU_DEP_1)
	v_mul_f64_e32 v[4:5], 0x3fe45f306dc9c883, v[2:3]
	v_rndne_f64_e32 v[8:9], v[4:5]
	s_delay_alu instid0(VALU_DEP_1) | instskip(SKIP_1) | instid1(VALU_DEP_1)
	v_mul_f64_e32 v[4:5], 0xbc91a62633145c00, v[8:9]
	v_fmamk_f64 v[2:3], v[8:9], 0xbff921fb54442d18, v[2:3]
	v_add_f64_e32 v[6:7], v[2:3], v[4:5]
	s_delay_alu instid0(VALU_DEP_1) | instskip(SKIP_1) | instid1(VALU_DEP_1)
	v_add_f64_e64 v[10:11], v[2:3], -v[6:7]
	v_fmamk_f64 v[2:3], v[8:9], 0xbc91a62633145c00, v[2:3]
	v_add_f64_e64 v[6:7], v[6:7], -v[2:3]
	s_delay_alu instid0(VALU_DEP_3) | instskip(SKIP_1) | instid1(VALU_DEP_2)
	v_add_f64_e32 v[10:11], v[10:11], v[4:5]
	v_fmamk_f64 v[4:5], v[8:9], 0x3c91a62633145c00, v[4:5]
	v_add_f64_e32 v[6:7], v[6:7], v[10:11]
	s_delay_alu instid0(VALU_DEP_1) | instskip(NEXT) | instid1(VALU_DEP_1)
	v_add_f64_e64 v[4:5], v[6:7], -v[4:5]
	v_fmamk_f64 v[6:7], v[8:9], 0xb97b839a252049c0, v[4:5]
	v_cvt_i32_f64_e32 v8, v[8:9]
	s_delay_alu instid0(VALU_DEP_2) | instskip(NEXT) | instid1(VALU_DEP_1)
	v_add_f64_e32 v[4:5], v[2:3], v[6:7]
	v_add_f64_e64 v[2:3], v[4:5], -v[2:3]
	s_delay_alu instid0(VALU_DEP_1)
	v_add_f64_e64 v[6:7], v[6:7], -v[2:3]
.LBB59_13:
	s_or_b32 exec_lo, exec_lo, s0
	v_mul_f64_e32 v[2:3], v[4:5], v[4:5]
	s_delay_alu instid0(VALU_DEP_2) | instskip(SKIP_2) | instid1(VALU_DEP_2)
	v_mul_f64_e32 v[16:17], 0.5, v[6:7]
	s_mov_b64 s[0:1], 0x3de5e0b2f9a43bb8
	s_mov_b32 s2, exec_lo
	v_mul_f64_e32 v[10:11], 0.5, v[2:3]
	v_mul_f64_e64 v[18:19], v[4:5], -v[2:3]
	v_fmaak_f64 v[20:21], s[0:1], v[2:3], 0xbe5ae600b42fdfa7
	s_mov_b64 s[0:1], 0xbda907db46cc5e42
	s_delay_alu instid0(VALU_DEP_1) | instskip(NEXT) | instid1(VALU_DEP_4)
	v_fmaak_f64 v[20:21], v[2:3], v[20:21], 0x3ec71de3796cde01
	v_add_f64_e64 v[12:13], -v[10:11], 1.0
	s_delay_alu instid0(VALU_DEP_1) | instskip(NEXT) | instid1(VALU_DEP_1)
	v_add_f64_e64 v[14:15], -v[12:13], 1.0
	v_add_f64_e64 v[10:11], v[14:15], -v[10:11]
	s_delay_alu instid0(VALU_DEP_4) | instskip(SKIP_1) | instid1(VALU_DEP_2)
	v_fmaak_f64 v[14:15], v[2:3], v[20:21], 0xbf2a01a019e83e5c
	v_mul_f64_e32 v[20:21], v[2:3], v[2:3]
	v_fmaak_f64 v[14:15], v[2:3], v[14:15], 0x3f81111111110bb3
	s_delay_alu instid0(VALU_DEP_1) | instskip(SKIP_2) | instid1(VALU_DEP_1)
	v_fmac_f64_e32 v[16:17], v[18:19], v[14:15]
	v_fmaak_f64 v[14:15], s[0:1], v[2:3], 0x3e21eeb69037ab78
	s_mov_b64 s[0:1], 0x7ff0000000000000
	v_fmaak_f64 v[14:15], v[2:3], v[14:15], 0xbe927e4fa17f65f6
	s_delay_alu instid0(VALU_DEP_1) | instskip(SKIP_1) | instid1(VALU_DEP_2)
	v_fmaak_f64 v[14:15], v[2:3], v[14:15], 0x3efa01a019f4ec90
	v_fma_f64 v[10:11], v[4:5], -v[6:7], v[10:11]
	v_fmaak_f64 v[14:15], v[2:3], v[14:15], 0xbf56c16c16c16967
	v_fma_f64 v[6:7], v[2:3], v[16:17], -v[6:7]
	s_delay_alu instid0(VALU_DEP_2) | instskip(NEXT) | instid1(VALU_DEP_1)
	v_fmaak_f64 v[2:3], v[2:3], v[14:15], 0x3fa5555555555555
	v_fmac_f64_e32 v[10:11], v[20:21], v[2:3]
	s_delay_alu instid0(VALU_DEP_3) | instskip(SKIP_1) | instid1(VALU_DEP_1)
	v_fmamk_f64 v[2:3], v[18:19], 0xbfc5555555555555, v[6:7]
	v_dual_lshlrev_b32 v6, 30, v8 :: v_dual_bitop2_b32 v7, 1, v8 bitop3:0x40
	v_cmp_eq_u32_e32 vcc_lo, 0, v7
	s_delay_alu instid0(VALU_DEP_3) | instskip(NEXT) | instid1(VALU_DEP_3)
	v_add_f64_e64 v[2:3], v[4:5], -v[2:3]
	v_and_b32_e32 v8, 0x80000000, v6
	v_add_f64_e32 v[4:5], v[12:13], v[10:11]
	s_delay_alu instid0(VALU_DEP_3) | instskip(NEXT) | instid1(VALU_DEP_1)
	v_xor_b32_e32 v3, 0x80000000, v3
	v_cndmask_b32_e32 v3, v3, v5, vcc_lo
	v_mov_b32_e32 v5, 0x80
	s_delay_alu instid0(VALU_DEP_2) | instskip(SKIP_1) | instid1(VALU_DEP_1)
	v_bitop3_b32 v9, v3, 0x7ff00000, v8 bitop3:0x48
	v_mov_b32_e32 v8, 0
	v_cmpx_ne_u64_e64 s[0:1], v[8:9]
	s_cbranch_execz .LBB59_25
; %bb.14:
	v_bitop3_b32 v3, v3, v6, 0x80000000 bitop3:0x78
	v_cndmask_b32_e32 v2, v2, v4, vcc_lo
	s_mov_b64 s[0:1], 0x40ec000000000001
	s_delay_alu instid0(VALU_DEP_2) | instskip(NEXT) | instid1(VALU_DEP_2)
	v_and_b32_e32 v5, 0x7fffffff, v3
	v_mov_b32_e32 v4, v2
	s_delay_alu instid0(VALU_DEP_1) | instskip(SKIP_1) | instid1(SALU_CYCLE_1)
	v_cmp_gt_u64_e32 vcc_lo, s[0:1], v[4:5]
                                        ; implicit-def: $vgpr5
	s_and_saveexec_b32 s0, vcc_lo
	s_xor_b32 s3, exec_lo, s0
	s_cbranch_execz .LBB59_22
; %bb.15:
	v_mov_b32_e32 v5, 0
	s_mov_b32 s4, exec_lo
	v_cmpx_ne_u64_e32 0, v[2:3]
	s_cbranch_execz .LBB59_21
; %bb.16:
	v_bfe_u32 v14, v3, 20, 11
	v_and_b32_e32 v5, 0xfffff, v3
	s_mov_b32 s5, 0
	s_delay_alu instid0(VALU_DEP_2) | instskip(SKIP_1) | instid1(VALU_DEP_3)
	v_sub_nc_u32_e64 v4, 0x3f0, v14 clamp
	v_cmp_eq_u32_e32 vcc_lo, 0, v14
	v_or_b32_e32 v6, 0x100000, v5
	s_delay_alu instid0(VALU_DEP_3) | instskip(SKIP_1) | instid1(VALU_DEP_2)
	v_cndmask_b32_e64 v15, v4, 0x3ef, vcc_lo
	v_mov_b32_e32 v4, v2
	v_dual_cndmask_b32 v5, v6, v5, vcc_lo :: v_dual_add_nc_u32 v7, 49, v15
	v_add_nc_u32_e32 v6, 50, v15
	s_delay_alu instid0(VALU_DEP_2) | instskip(NEXT) | instid1(VALU_DEP_3)
	v_lshrrev_b64 v[10:11], v15, v[4:5]
	v_lshlrev_b64_e64 v[12:13], v7, 1
	s_delay_alu instid0(VALU_DEP_3) | instskip(SKIP_1) | instid1(VALU_DEP_4)
	v_lshlrev_b64_e64 v[8:9], v6, -1
	v_mov_b32_e32 v6, 0
	v_and_b32_e32 v7, 0x40000, v11
	s_delay_alu instid0(VALU_DEP_3) | instskip(NEXT) | instid1(VALU_DEP_4)
	v_bfi_b32 v5, v9, 0, v5
	v_bfi_b32 v4, v8, 0, v2
	v_add_nc_u32_e32 v2, 0xfffffc11, v14
	s_delay_alu instid0(VALU_DEP_2) | instskip(SKIP_2) | instid1(VALU_DEP_4)
	v_cmp_eq_u64_e64 s1, v[4:5], v[12:13]
	v_mov_b32_e32 v5, s5
	v_cmp_eq_u64_e64 s0, 0, v[6:7]
	v_cndmask_b32_e64 v2, v2, 0xfffffc12, vcc_lo
	v_lshrrev_b32_e32 v7, 20, v11
	s_and_b32 s0, s0, s1
	s_delay_alu instid0(VALU_DEP_1) | instskip(SKIP_2) | instid1(VALU_DEP_2)
	v_add3_u32 v8, v2, v15, v7
	v_cndmask_b32_e64 v4, 0, 1, s0
	s_mov_b32 s0, exec_lo
                                        ; implicit-def: $vgpr2
	v_add_nc_u32_e32 v9, -1, v8
	s_delay_alu instid0(VALU_DEP_2) | instskip(NEXT) | instid1(VALU_DEP_1)
	v_sub_nc_u64_e32 v[4:5], v[10:11], v[4:5]
	v_and_b32_e32 v5, 0x3ffff, v5
	s_delay_alu instid0(VALU_DEP_1) | instskip(NEXT) | instid1(VALU_DEP_4)
	v_add_nc_u64_e32 v[4:5], v[4:5], v[10:11]
	v_cmpx_ne_u32_e32 0, v9
	s_xor_b32 s0, exec_lo, s0
; %bb.17:
	s_delay_alu instid0(VALU_DEP_2) | instskip(SKIP_1) | instid1(VALU_DEP_2)
	v_and_b32_e32 v7, 0x200000, v5
	v_bfe_u32 v2, v5, 21, 1
	v_cmp_eq_u64_e32 vcc_lo, 0, v[6:7]
	s_delay_alu instid0(VALU_DEP_2)
	v_lshrrev_b64 v[4:5], v2, v[4:5]
	v_cndmask_b32_e32 v2, v8, v9, vcc_lo
; %bb.18:
	s_and_not1_saveexec_b32 s0, s0
; %bb.19:
	s_delay_alu instid0(VALU_DEP_2)
	v_bfe_u32 v2, v5, 20, 1
; %bb.20:
	s_or_b32 exec_lo, exec_lo, s0
	v_dual_lshrrev_b32 v3, 24, v3 :: v_dual_lshrrev_b32 v4, 18, v5
	s_delay_alu instid0(VALU_DEP_2) | instskip(SKIP_1) | instid1(VALU_DEP_3)
	v_cmp_gt_i32_e32 vcc_lo, 32, v2
	v_dual_mov_b32 v5, 0 :: v_dual_min_i32 v6, 31, v2
	v_and_b32_e32 v3, 0x80, v3
	v_cmp_eq_u32_e64 s0, 0, v2
	v_cndmask_b32_e32 v4, 3, v4, vcc_lo
	s_delay_alu instid0(VALU_DEP_3) | instskip(NEXT) | instid1(VALU_DEP_2)
	v_lshl_or_b32 v3, v6, 2, v3
	v_cmp_eq_u64_e32 vcc_lo, 0, v[4:5]
	s_delay_alu instid0(VALU_DEP_2)
	v_and_or_b32 v2, v4, 3, v3
	s_and_b32 s0, s0, vcc_lo
	s_delay_alu instid0(VALU_DEP_1) | instid1(SALU_CYCLE_1)
	v_cndmask_b32_e64 v5, v2, 0, s0
.LBB59_21:
	s_or_b32 exec_lo, exec_lo, s4
                                        ; implicit-def: $vgpr2_vgpr3
.LBB59_22:
	s_and_not1_saveexec_b32 s0, s3
; %bb.23:
	v_lshrrev_b32_e32 v2, 24, v3
	s_delay_alu instid0(VALU_DEP_1)
	v_or_b32_e32 v5, 0x7f, v2
; %bb.24:
	s_or_b32 exec_lo, exec_lo, s0
.LBB59_25:
	s_delay_alu instid0(SALU_CYCLE_1)
	s_or_b32 exec_lo, exec_lo, s2
	v_add_nc_u64_e32 v[0:1], s[12:13], v[0:1]
	global_store_b8 v[0:1], v5, off
.LBB59_26:
	s_endpgm
	.section	.rodata,"a",@progbits
	.p2align	6, 0x0
	.amdhsa_kernel _Z11fill_kernelI18hipblaslt_bf8_fnuzZ21hipblaslt_init_deviceIS0_Ev8ABC_dims24hipblaslt_initializationbPT_mmmmmEUlmE3_EvS5_mmT0_
		.amdhsa_group_segment_fixed_size 0
		.amdhsa_private_segment_fixed_size 0
		.amdhsa_kernarg_size 312
		.amdhsa_user_sgpr_count 2
		.amdhsa_user_sgpr_dispatch_ptr 0
		.amdhsa_user_sgpr_queue_ptr 0
		.amdhsa_user_sgpr_kernarg_segment_ptr 1
		.amdhsa_user_sgpr_dispatch_id 0
		.amdhsa_user_sgpr_kernarg_preload_length 0
		.amdhsa_user_sgpr_kernarg_preload_offset 0
		.amdhsa_user_sgpr_private_segment_size 0
		.amdhsa_wavefront_size32 1
		.amdhsa_uses_dynamic_stack 0
		.amdhsa_enable_private_segment 0
		.amdhsa_system_sgpr_workgroup_id_x 1
		.amdhsa_system_sgpr_workgroup_id_y 0
		.amdhsa_system_sgpr_workgroup_id_z 0
		.amdhsa_system_sgpr_workgroup_info 0
		.amdhsa_system_vgpr_workitem_id 0
		.amdhsa_next_free_vgpr 34
		.amdhsa_next_free_sgpr 24
		.amdhsa_named_barrier_count 0
		.amdhsa_reserve_vcc 1
		.amdhsa_float_round_mode_32 0
		.amdhsa_float_round_mode_16_64 0
		.amdhsa_float_denorm_mode_32 3
		.amdhsa_float_denorm_mode_16_64 3
		.amdhsa_fp16_overflow 0
		.amdhsa_memory_ordered 1
		.amdhsa_forward_progress 1
		.amdhsa_inst_pref_size 26
		.amdhsa_round_robin_scheduling 0
		.amdhsa_exception_fp_ieee_invalid_op 0
		.amdhsa_exception_fp_denorm_src 0
		.amdhsa_exception_fp_ieee_div_zero 0
		.amdhsa_exception_fp_ieee_overflow 0
		.amdhsa_exception_fp_ieee_underflow 0
		.amdhsa_exception_fp_ieee_inexact 0
		.amdhsa_exception_int_div_zero 0
	.end_amdhsa_kernel
	.section	.text._Z11fill_kernelI18hipblaslt_bf8_fnuzZ21hipblaslt_init_deviceIS0_Ev8ABC_dims24hipblaslt_initializationbPT_mmmmmEUlmE3_EvS5_mmT0_,"axG",@progbits,_Z11fill_kernelI18hipblaslt_bf8_fnuzZ21hipblaslt_init_deviceIS0_Ev8ABC_dims24hipblaslt_initializationbPT_mmmmmEUlmE3_EvS5_mmT0_,comdat
.Lfunc_end59:
	.size	_Z11fill_kernelI18hipblaslt_bf8_fnuzZ21hipblaslt_init_deviceIS0_Ev8ABC_dims24hipblaslt_initializationbPT_mmmmmEUlmE3_EvS5_mmT0_, .Lfunc_end59-_Z11fill_kernelI18hipblaslt_bf8_fnuzZ21hipblaslt_init_deviceIS0_Ev8ABC_dims24hipblaslt_initializationbPT_mmmmmEUlmE3_EvS5_mmT0_
                                        ; -- End function
	.set _Z11fill_kernelI18hipblaslt_bf8_fnuzZ21hipblaslt_init_deviceIS0_Ev8ABC_dims24hipblaslt_initializationbPT_mmmmmEUlmE3_EvS5_mmT0_.num_vgpr, 34
	.set _Z11fill_kernelI18hipblaslt_bf8_fnuzZ21hipblaslt_init_deviceIS0_Ev8ABC_dims24hipblaslt_initializationbPT_mmmmmEUlmE3_EvS5_mmT0_.num_agpr, 0
	.set _Z11fill_kernelI18hipblaslt_bf8_fnuzZ21hipblaslt_init_deviceIS0_Ev8ABC_dims24hipblaslt_initializationbPT_mmmmmEUlmE3_EvS5_mmT0_.numbered_sgpr, 24
	.set _Z11fill_kernelI18hipblaslt_bf8_fnuzZ21hipblaslt_init_deviceIS0_Ev8ABC_dims24hipblaslt_initializationbPT_mmmmmEUlmE3_EvS5_mmT0_.num_named_barrier, 0
	.set _Z11fill_kernelI18hipblaslt_bf8_fnuzZ21hipblaslt_init_deviceIS0_Ev8ABC_dims24hipblaslt_initializationbPT_mmmmmEUlmE3_EvS5_mmT0_.private_seg_size, 0
	.set _Z11fill_kernelI18hipblaslt_bf8_fnuzZ21hipblaslt_init_deviceIS0_Ev8ABC_dims24hipblaslt_initializationbPT_mmmmmEUlmE3_EvS5_mmT0_.uses_vcc, 1
	.set _Z11fill_kernelI18hipblaslt_bf8_fnuzZ21hipblaslt_init_deviceIS0_Ev8ABC_dims24hipblaslt_initializationbPT_mmmmmEUlmE3_EvS5_mmT0_.uses_flat_scratch, 0
	.set _Z11fill_kernelI18hipblaslt_bf8_fnuzZ21hipblaslt_init_deviceIS0_Ev8ABC_dims24hipblaslt_initializationbPT_mmmmmEUlmE3_EvS5_mmT0_.has_dyn_sized_stack, 0
	.set _Z11fill_kernelI18hipblaslt_bf8_fnuzZ21hipblaslt_init_deviceIS0_Ev8ABC_dims24hipblaslt_initializationbPT_mmmmmEUlmE3_EvS5_mmT0_.has_recursion, 0
	.set _Z11fill_kernelI18hipblaslt_bf8_fnuzZ21hipblaslt_init_deviceIS0_Ev8ABC_dims24hipblaslt_initializationbPT_mmmmmEUlmE3_EvS5_mmT0_.has_indirect_call, 0
	.section	.AMDGPU.csdata,"",@progbits
; Kernel info:
; codeLenInByte = 3320
; TotalNumSgprs: 26
; NumVgprs: 34
; ScratchSize: 0
; MemoryBound: 0
; FloatMode: 240
; IeeeMode: 1
; LDSByteSize: 0 bytes/workgroup (compile time only)
; SGPRBlocks: 0
; VGPRBlocks: 2
; NumSGPRsForWavesPerEU: 26
; NumVGPRsForWavesPerEU: 34
; NamedBarCnt: 0
; Occupancy: 16
; WaveLimiterHint : 0
; COMPUTE_PGM_RSRC2:SCRATCH_EN: 0
; COMPUTE_PGM_RSRC2:USER_SGPR: 2
; COMPUTE_PGM_RSRC2:TRAP_HANDLER: 0
; COMPUTE_PGM_RSRC2:TGID_X_EN: 1
; COMPUTE_PGM_RSRC2:TGID_Y_EN: 0
; COMPUTE_PGM_RSRC2:TGID_Z_EN: 0
; COMPUTE_PGM_RSRC2:TIDIG_COMP_CNT: 0
	.section	.text._Z11fill_kernelI18hipblaslt_bf8_fnuzZ21hipblaslt_init_deviceIS0_Ev8ABC_dims24hipblaslt_initializationbPT_mmmmmEUlmE4_EvS5_mmT0_,"axG",@progbits,_Z11fill_kernelI18hipblaslt_bf8_fnuzZ21hipblaslt_init_deviceIS0_Ev8ABC_dims24hipblaslt_initializationbPT_mmmmmEUlmE4_EvS5_mmT0_,comdat
	.protected	_Z11fill_kernelI18hipblaslt_bf8_fnuzZ21hipblaslt_init_deviceIS0_Ev8ABC_dims24hipblaslt_initializationbPT_mmmmmEUlmE4_EvS5_mmT0_ ; -- Begin function _Z11fill_kernelI18hipblaslt_bf8_fnuzZ21hipblaslt_init_deviceIS0_Ev8ABC_dims24hipblaslt_initializationbPT_mmmmmEUlmE4_EvS5_mmT0_
	.globl	_Z11fill_kernelI18hipblaslt_bf8_fnuzZ21hipblaslt_init_deviceIS0_Ev8ABC_dims24hipblaslt_initializationbPT_mmmmmEUlmE4_EvS5_mmT0_
	.p2align	8
	.type	_Z11fill_kernelI18hipblaslt_bf8_fnuzZ21hipblaslt_init_deviceIS0_Ev8ABC_dims24hipblaslt_initializationbPT_mmmmmEUlmE4_EvS5_mmT0_,@function
_Z11fill_kernelI18hipblaslt_bf8_fnuzZ21hipblaslt_init_deviceIS0_Ev8ABC_dims24hipblaslt_initializationbPT_mmmmmEUlmE4_EvS5_mmT0_: ; @_Z11fill_kernelI18hipblaslt_bf8_fnuzZ21hipblaslt_init_deviceIS0_Ev8ABC_dims24hipblaslt_initializationbPT_mmmmmEUlmE4_EvS5_mmT0_
; %bb.0:
	s_clause 0x1
	s_load_b32 s2, s[0:1], 0x2c
	s_load_b128 s[4:7], s[0:1], 0x0
	s_bfe_u32 s3, ttmp6, 0x4000c
	s_and_b32 s8, ttmp6, 15
	s_add_co_i32 s3, s3, 1
	s_getreg_b32 s9, hwreg(HW_REG_IB_STS2, 6, 4)
	s_mul_i32 s3, ttmp9, s3
	v_mov_b32_e32 v5, 0
	s_add_co_i32 s8, s8, s3
	s_wait_kmcnt 0x0
	s_and_b32 s2, s2, 0xffff
	s_cmp_eq_u32 s9, 0
	s_cselect_b32 s3, ttmp9, s8
	s_delay_alu instid0(SALU_CYCLE_1) | instskip(SKIP_1) | instid1(VALU_DEP_1)
	v_mad_u32 v4, s3, s2, v0
	s_mov_b32 s2, exec_lo
	v_cmpx_gt_u64_e64 s[6:7], v[4:5]
	s_cbranch_execz .LBB60_14
; %bb.1:
	s_load_b64 s[0:1], s[0:1], 0x10
	s_mov_b32 s2, exec_lo
	s_wait_kmcnt 0x0
	v_add_nc_u64_e32 v[0:1], s[0:1], v[4:5]
	s_mov_b32 s0, 0x19660d
	v_mov_b32_e32 v4, 0x80
	s_delay_alu instid0(VALU_DEP_2) | instskip(SKIP_1) | instid1(VALU_DEP_1)
	v_mad_nc_u64_u32 v[2:3], v0, s0, 0x3c6ef35f
	s_mov_b64 s[0:1], 0x41efffffffe00000
	v_mad_u32 v3, 0x19660d, v1, v3
	s_delay_alu instid0(VALU_DEP_1) | instskip(NEXT) | instid1(VALU_DEP_1)
	v_lshlrev_b64_e32 v[6:7], 13, v[2:3]
	v_xor_b32_e32 v3, v7, v3
	s_delay_alu instid0(VALU_DEP_2) | instskip(NEXT) | instid1(VALU_DEP_1)
	v_xor_b32_e32 v2, v6, v2
	v_lshrrev_b64 v[6:7], 17, v[2:3]
	s_delay_alu instid0(VALU_DEP_1) | instskip(NEXT) | instid1(VALU_DEP_2)
	v_xor_b32_e32 v3, v7, v3
	v_xor_b32_e32 v2, v6, v2
	s_delay_alu instid0(VALU_DEP_1) | instskip(NEXT) | instid1(VALU_DEP_1)
	v_lshlrev_b64_e32 v[6:7], 5, v[2:3]
	v_xor_b32_e32 v3, v7, v3
	s_delay_alu instid0(VALU_DEP_2) | instskip(NEXT) | instid1(VALU_DEP_1)
	v_xor_b32_e32 v2, v6, v2
	v_lshlrev_b64_e32 v[6:7], 13, v[2:3]
	s_delay_alu instid0(VALU_DEP_1) | instskip(NEXT) | instid1(VALU_DEP_2)
	v_xor_b32_e32 v3, v7, v3
	v_xor_b32_e32 v2, v6, v2
	s_delay_alu instid0(VALU_DEP_1) | instskip(NEXT) | instid1(VALU_DEP_1)
	v_lshrrev_b64 v[6:7], 17, v[2:3]
	v_xor_b32_e32 v3, v7, v3
	s_delay_alu instid0(VALU_DEP_2) | instskip(NEXT) | instid1(VALU_DEP_1)
	v_xor_b32_e32 v2, v6, v2
	v_lshlrev_b64_e32 v[6:7], 5, v[2:3]
	s_delay_alu instid0(VALU_DEP_1) | instskip(NEXT) | instid1(VALU_DEP_2)
	v_xor_b32_e32 v3, v7, v3
	v_xor_b32_e32 v2, v6, v2
	s_delay_alu instid0(VALU_DEP_1) | instskip(NEXT) | instid1(VALU_DEP_1)
	v_lshlrev_b64_e32 v[6:7], 13, v[2:3]
	v_xor_b32_e32 v3, v7, v3
	s_delay_alu instid0(VALU_DEP_2) | instskip(NEXT) | instid1(VALU_DEP_1)
	v_xor_b32_e32 v2, v6, v2
	v_alignbit_b32 v3, v3, v2, 17
	s_delay_alu instid0(VALU_DEP_1) | instskip(NEXT) | instid1(VALU_DEP_1)
	v_xor_b32_e32 v2, v3, v2
	v_lshlrev_b32_e32 v3, 5, v2
	s_delay_alu instid0(VALU_DEP_1) | instskip(NEXT) | instid1(VALU_DEP_1)
	v_xor_b32_e32 v2, v3, v2
	v_cvt_f64_u32_e32 v[2:3], v2
	s_delay_alu instid0(VALU_DEP_1) | instskip(SKIP_1) | instid1(VALU_DEP_2)
	v_div_scale_f64 v[6:7], null, s[0:1], s[0:1], v[2:3]
	v_div_scale_f64 v[12:13], vcc_lo, v[2:3], s[0:1], v[2:3]
	v_rcp_f64_e32 v[8:9], v[6:7]
	v_nop
	s_delay_alu instid0(TRANS32_DEP_1) | instskip(NEXT) | instid1(VALU_DEP_1)
	v_fma_f64 v[10:11], -v[6:7], v[8:9], 1.0
	v_fmac_f64_e32 v[8:9], v[8:9], v[10:11]
	s_delay_alu instid0(VALU_DEP_1) | instskip(NEXT) | instid1(VALU_DEP_1)
	v_fma_f64 v[10:11], -v[6:7], v[8:9], 1.0
	v_fmac_f64_e32 v[8:9], v[8:9], v[10:11]
	s_delay_alu instid0(VALU_DEP_1) | instskip(NEXT) | instid1(VALU_DEP_1)
	v_mul_f64_e32 v[10:11], v[12:13], v[8:9]
	v_fma_f64 v[6:7], -v[6:7], v[10:11], v[12:13]
	s_delay_alu instid0(VALU_DEP_1) | instskip(NEXT) | instid1(VALU_DEP_1)
	v_div_fmas_f64 v[6:7], v[6:7], v[8:9], v[10:11]
	v_div_fixup_f64 v[2:3], v[6:7], s[0:1], v[2:3]
	v_mov_b32_e32 v6, v5
	s_mov_b64 s[0:1], 0x7ff0000000000000
	s_delay_alu instid0(VALU_DEP_2) | instskip(NEXT) | instid1(VALU_DEP_1)
	v_add_f64_e32 v[2:3], -0.5, v[2:3]
	v_and_b32_e32 v7, 0x7ff00000, v3
	s_delay_alu instid0(VALU_DEP_1)
	v_cmpx_ne_u64_e64 s[0:1], v[6:7]
	s_cbranch_execz .LBB60_13
; %bb.2:
	v_and_b32_e32 v5, 0x7fffffff, v3
	s_delay_alu instid0(VALU_DEP_4)
	v_mov_b32_e32 v4, v2
	s_mov_b64 s[0:1], 0x40ec000000000001
	s_delay_alu instid0(VALU_DEP_1) | instid1(SALU_CYCLE_1)
	v_cmp_gt_u64_e32 vcc_lo, s[0:1], v[4:5]
                                        ; implicit-def: $vgpr4
	s_and_saveexec_b32 s0, vcc_lo
	s_delay_alu instid0(SALU_CYCLE_1)
	s_xor_b32 s3, exec_lo, s0
	s_cbranch_execz .LBB60_10
; %bb.3:
	v_mov_b32_e32 v4, 0
	s_mov_b32 s6, exec_lo
	v_cmpx_ne_u64_e32 0, v[2:3]
	s_cbranch_execz .LBB60_9
; %bb.4:
	v_bfe_u32 v14, v3, 20, 11
	v_and_b32_e32 v5, 0xfffff, v3
	s_mov_b32 s7, 0
	s_delay_alu instid0(VALU_DEP_2) | instskip(SKIP_1) | instid1(VALU_DEP_3)
	v_sub_nc_u32_e64 v4, 0x3f0, v14 clamp
	v_cmp_eq_u32_e32 vcc_lo, 0, v14
	v_or_b32_e32 v6, 0x100000, v5
	s_delay_alu instid0(VALU_DEP_3) | instskip(SKIP_1) | instid1(VALU_DEP_2)
	v_cndmask_b32_e64 v15, v4, 0x3ef, vcc_lo
	v_mov_b32_e32 v4, v2
	v_dual_cndmask_b32 v5, v6, v5, vcc_lo :: v_dual_add_nc_u32 v7, 49, v15
	v_add_nc_u32_e32 v6, 50, v15
	s_delay_alu instid0(VALU_DEP_2) | instskip(NEXT) | instid1(VALU_DEP_3)
	v_lshrrev_b64 v[10:11], v15, v[4:5]
	v_lshlrev_b64_e64 v[12:13], v7, 1
	s_delay_alu instid0(VALU_DEP_3) | instskip(SKIP_1) | instid1(VALU_DEP_4)
	v_lshlrev_b64_e64 v[8:9], v6, -1
	v_mov_b32_e32 v6, 0
	v_and_b32_e32 v7, 0x40000, v11
	s_delay_alu instid0(VALU_DEP_3) | instskip(NEXT) | instid1(VALU_DEP_4)
	v_bfi_b32 v5, v9, 0, v5
	v_bfi_b32 v4, v8, 0, v2
	v_add_nc_u32_e32 v2, 0xfffffc11, v14
	s_delay_alu instid0(VALU_DEP_2) | instskip(SKIP_2) | instid1(VALU_DEP_4)
	v_cmp_eq_u64_e64 s1, v[4:5], v[12:13]
	v_mov_b32_e32 v5, s7
	v_cmp_eq_u64_e64 s0, 0, v[6:7]
	v_cndmask_b32_e64 v2, v2, 0xfffffc12, vcc_lo
	v_lshrrev_b32_e32 v7, 20, v11
	s_and_b32 s0, s0, s1
	s_delay_alu instid0(VALU_DEP_1) | instskip(SKIP_2) | instid1(VALU_DEP_2)
	v_add3_u32 v8, v2, v15, v7
	v_cndmask_b32_e64 v4, 0, 1, s0
	s_mov_b32 s0, exec_lo
                                        ; implicit-def: $vgpr2
	v_add_nc_u32_e32 v9, -1, v8
	s_delay_alu instid0(VALU_DEP_2) | instskip(NEXT) | instid1(VALU_DEP_1)
	v_sub_nc_u64_e32 v[4:5], v[10:11], v[4:5]
	v_and_b32_e32 v5, 0x3ffff, v5
	s_delay_alu instid0(VALU_DEP_1) | instskip(NEXT) | instid1(VALU_DEP_4)
	v_add_nc_u64_e32 v[4:5], v[4:5], v[10:11]
	v_cmpx_ne_u32_e32 0, v9
	s_xor_b32 s0, exec_lo, s0
; %bb.5:
	s_delay_alu instid0(VALU_DEP_2) | instskip(SKIP_1) | instid1(VALU_DEP_2)
	v_and_b32_e32 v7, 0x200000, v5
	v_bfe_u32 v2, v5, 21, 1
	v_cmp_eq_u64_e32 vcc_lo, 0, v[6:7]
	s_delay_alu instid0(VALU_DEP_2)
	v_lshrrev_b64 v[4:5], v2, v[4:5]
	v_cndmask_b32_e32 v2, v8, v9, vcc_lo
; %bb.6:
	s_and_not1_saveexec_b32 s0, s0
; %bb.7:
	s_delay_alu instid0(VALU_DEP_2)
	v_bfe_u32 v2, v5, 20, 1
; %bb.8:
	s_or_b32 exec_lo, exec_lo, s0
	v_dual_lshrrev_b32 v3, 24, v3 :: v_dual_lshrrev_b32 v4, 18, v5
	s_delay_alu instid0(VALU_DEP_2) | instskip(SKIP_1) | instid1(VALU_DEP_3)
	v_cmp_gt_i32_e32 vcc_lo, 32, v2
	v_dual_mov_b32 v5, 0 :: v_dual_min_i32 v6, 31, v2
	v_and_b32_e32 v3, 0x80, v3
	v_cmp_eq_u32_e64 s0, 0, v2
	v_cndmask_b32_e32 v4, 3, v4, vcc_lo
	s_delay_alu instid0(VALU_DEP_3) | instskip(NEXT) | instid1(VALU_DEP_2)
	v_lshl_or_b32 v3, v6, 2, v3
	v_cmp_eq_u64_e32 vcc_lo, 0, v[4:5]
	s_delay_alu instid0(VALU_DEP_2)
	v_and_or_b32 v2, v4, 3, v3
	s_and_b32 s0, s0, vcc_lo
	s_delay_alu instid0(VALU_DEP_1) | instid1(SALU_CYCLE_1)
	v_cndmask_b32_e64 v4, v2, 0, s0
.LBB60_9:
	s_or_b32 exec_lo, exec_lo, s6
                                        ; implicit-def: $vgpr2_vgpr3
.LBB60_10:
	s_and_not1_saveexec_b32 s0, s3
; %bb.11:
	v_lshrrev_b32_e32 v2, 24, v3
	s_delay_alu instid0(VALU_DEP_1)
	v_or_b32_e32 v4, 0x7f, v2
; %bb.12:
	s_or_b32 exec_lo, exec_lo, s0
.LBB60_13:
	s_delay_alu instid0(SALU_CYCLE_1)
	s_or_b32 exec_lo, exec_lo, s2
	v_add_nc_u64_e32 v[0:1], s[4:5], v[0:1]
	global_store_b8 v[0:1], v4, off
.LBB60_14:
	s_endpgm
	.section	.rodata,"a",@progbits
	.p2align	6, 0x0
	.amdhsa_kernel _Z11fill_kernelI18hipblaslt_bf8_fnuzZ21hipblaslt_init_deviceIS0_Ev8ABC_dims24hipblaslt_initializationbPT_mmmmmEUlmE4_EvS5_mmT0_
		.amdhsa_group_segment_fixed_size 0
		.amdhsa_private_segment_fixed_size 0
		.amdhsa_kernarg_size 288
		.amdhsa_user_sgpr_count 2
		.amdhsa_user_sgpr_dispatch_ptr 0
		.amdhsa_user_sgpr_queue_ptr 0
		.amdhsa_user_sgpr_kernarg_segment_ptr 1
		.amdhsa_user_sgpr_dispatch_id 0
		.amdhsa_user_sgpr_kernarg_preload_length 0
		.amdhsa_user_sgpr_kernarg_preload_offset 0
		.amdhsa_user_sgpr_private_segment_size 0
		.amdhsa_wavefront_size32 1
		.amdhsa_uses_dynamic_stack 0
		.amdhsa_enable_private_segment 0
		.amdhsa_system_sgpr_workgroup_id_x 1
		.amdhsa_system_sgpr_workgroup_id_y 0
		.amdhsa_system_sgpr_workgroup_id_z 0
		.amdhsa_system_sgpr_workgroup_info 0
		.amdhsa_system_vgpr_workitem_id 0
		.amdhsa_next_free_vgpr 16
		.amdhsa_next_free_sgpr 10
		.amdhsa_named_barrier_count 0
		.amdhsa_reserve_vcc 1
		.amdhsa_float_round_mode_32 0
		.amdhsa_float_round_mode_16_64 0
		.amdhsa_float_denorm_mode_32 3
		.amdhsa_float_denorm_mode_16_64 3
		.amdhsa_fp16_overflow 0
		.amdhsa_memory_ordered 1
		.amdhsa_forward_progress 1
		.amdhsa_inst_pref_size 8
		.amdhsa_round_robin_scheduling 0
		.amdhsa_exception_fp_ieee_invalid_op 0
		.amdhsa_exception_fp_denorm_src 0
		.amdhsa_exception_fp_ieee_div_zero 0
		.amdhsa_exception_fp_ieee_overflow 0
		.amdhsa_exception_fp_ieee_underflow 0
		.amdhsa_exception_fp_ieee_inexact 0
		.amdhsa_exception_int_div_zero 0
	.end_amdhsa_kernel
	.section	.text._Z11fill_kernelI18hipblaslt_bf8_fnuzZ21hipblaslt_init_deviceIS0_Ev8ABC_dims24hipblaslt_initializationbPT_mmmmmEUlmE4_EvS5_mmT0_,"axG",@progbits,_Z11fill_kernelI18hipblaslt_bf8_fnuzZ21hipblaslt_init_deviceIS0_Ev8ABC_dims24hipblaslt_initializationbPT_mmmmmEUlmE4_EvS5_mmT0_,comdat
.Lfunc_end60:
	.size	_Z11fill_kernelI18hipblaslt_bf8_fnuzZ21hipblaslt_init_deviceIS0_Ev8ABC_dims24hipblaslt_initializationbPT_mmmmmEUlmE4_EvS5_mmT0_, .Lfunc_end60-_Z11fill_kernelI18hipblaslt_bf8_fnuzZ21hipblaslt_init_deviceIS0_Ev8ABC_dims24hipblaslt_initializationbPT_mmmmmEUlmE4_EvS5_mmT0_
                                        ; -- End function
	.set _Z11fill_kernelI18hipblaslt_bf8_fnuzZ21hipblaslt_init_deviceIS0_Ev8ABC_dims24hipblaslt_initializationbPT_mmmmmEUlmE4_EvS5_mmT0_.num_vgpr, 16
	.set _Z11fill_kernelI18hipblaslt_bf8_fnuzZ21hipblaslt_init_deviceIS0_Ev8ABC_dims24hipblaslt_initializationbPT_mmmmmEUlmE4_EvS5_mmT0_.num_agpr, 0
	.set _Z11fill_kernelI18hipblaslt_bf8_fnuzZ21hipblaslt_init_deviceIS0_Ev8ABC_dims24hipblaslt_initializationbPT_mmmmmEUlmE4_EvS5_mmT0_.numbered_sgpr, 10
	.set _Z11fill_kernelI18hipblaslt_bf8_fnuzZ21hipblaslt_init_deviceIS0_Ev8ABC_dims24hipblaslt_initializationbPT_mmmmmEUlmE4_EvS5_mmT0_.num_named_barrier, 0
	.set _Z11fill_kernelI18hipblaslt_bf8_fnuzZ21hipblaslt_init_deviceIS0_Ev8ABC_dims24hipblaslt_initializationbPT_mmmmmEUlmE4_EvS5_mmT0_.private_seg_size, 0
	.set _Z11fill_kernelI18hipblaslt_bf8_fnuzZ21hipblaslt_init_deviceIS0_Ev8ABC_dims24hipblaslt_initializationbPT_mmmmmEUlmE4_EvS5_mmT0_.uses_vcc, 1
	.set _Z11fill_kernelI18hipblaslt_bf8_fnuzZ21hipblaslt_init_deviceIS0_Ev8ABC_dims24hipblaslt_initializationbPT_mmmmmEUlmE4_EvS5_mmT0_.uses_flat_scratch, 0
	.set _Z11fill_kernelI18hipblaslt_bf8_fnuzZ21hipblaslt_init_deviceIS0_Ev8ABC_dims24hipblaslt_initializationbPT_mmmmmEUlmE4_EvS5_mmT0_.has_dyn_sized_stack, 0
	.set _Z11fill_kernelI18hipblaslt_bf8_fnuzZ21hipblaslt_init_deviceIS0_Ev8ABC_dims24hipblaslt_initializationbPT_mmmmmEUlmE4_EvS5_mmT0_.has_recursion, 0
	.set _Z11fill_kernelI18hipblaslt_bf8_fnuzZ21hipblaslt_init_deviceIS0_Ev8ABC_dims24hipblaslt_initializationbPT_mmmmmEUlmE4_EvS5_mmT0_.has_indirect_call, 0
	.section	.AMDGPU.csdata,"",@progbits
; Kernel info:
; codeLenInByte = 1024
; TotalNumSgprs: 12
; NumVgprs: 16
; ScratchSize: 0
; MemoryBound: 0
; FloatMode: 240
; IeeeMode: 1
; LDSByteSize: 0 bytes/workgroup (compile time only)
; SGPRBlocks: 0
; VGPRBlocks: 0
; NumSGPRsForWavesPerEU: 12
; NumVGPRsForWavesPerEU: 16
; NamedBarCnt: 0
; Occupancy: 16
; WaveLimiterHint : 0
; COMPUTE_PGM_RSRC2:SCRATCH_EN: 0
; COMPUTE_PGM_RSRC2:USER_SGPR: 2
; COMPUTE_PGM_RSRC2:TRAP_HANDLER: 0
; COMPUTE_PGM_RSRC2:TGID_X_EN: 1
; COMPUTE_PGM_RSRC2:TGID_Y_EN: 0
; COMPUTE_PGM_RSRC2:TGID_Z_EN: 0
; COMPUTE_PGM_RSRC2:TIDIG_COMP_CNT: 0
	.section	.text._Z11fill_kernelI18hipblaslt_bf8_fnuzZ21hipblaslt_init_deviceIS0_Ev8ABC_dims24hipblaslt_initializationbPT_mmmmmEUlmE5_EvS5_mmT0_,"axG",@progbits,_Z11fill_kernelI18hipblaslt_bf8_fnuzZ21hipblaslt_init_deviceIS0_Ev8ABC_dims24hipblaslt_initializationbPT_mmmmmEUlmE5_EvS5_mmT0_,comdat
	.protected	_Z11fill_kernelI18hipblaslt_bf8_fnuzZ21hipblaslt_init_deviceIS0_Ev8ABC_dims24hipblaslt_initializationbPT_mmmmmEUlmE5_EvS5_mmT0_ ; -- Begin function _Z11fill_kernelI18hipblaslt_bf8_fnuzZ21hipblaslt_init_deviceIS0_Ev8ABC_dims24hipblaslt_initializationbPT_mmmmmEUlmE5_EvS5_mmT0_
	.globl	_Z11fill_kernelI18hipblaslt_bf8_fnuzZ21hipblaslt_init_deviceIS0_Ev8ABC_dims24hipblaslt_initializationbPT_mmmmmEUlmE5_EvS5_mmT0_
	.p2align	8
	.type	_Z11fill_kernelI18hipblaslt_bf8_fnuzZ21hipblaslt_init_deviceIS0_Ev8ABC_dims24hipblaslt_initializationbPT_mmmmmEUlmE5_EvS5_mmT0_,@function
_Z11fill_kernelI18hipblaslt_bf8_fnuzZ21hipblaslt_init_deviceIS0_Ev8ABC_dims24hipblaslt_initializationbPT_mmmmmEUlmE5_EvS5_mmT0_: ; @_Z11fill_kernelI18hipblaslt_bf8_fnuzZ21hipblaslt_init_deviceIS0_Ev8ABC_dims24hipblaslt_initializationbPT_mmmmmEUlmE5_EvS5_mmT0_
; %bb.0:
	s_clause 0x1
	s_load_b32 s2, s[0:1], 0x2c
	s_load_b128 s[4:7], s[0:1], 0x0
	s_bfe_u32 s3, ttmp6, 0x4000c
	s_and_b32 s8, ttmp6, 15
	s_add_co_i32 s3, s3, 1
	s_getreg_b32 s9, hwreg(HW_REG_IB_STS2, 6, 4)
	s_mul_i32 s3, ttmp9, s3
	v_mov_b32_e32 v1, 0
	s_add_co_i32 s8, s8, s3
	s_wait_kmcnt 0x0
	s_and_b32 s2, s2, 0xffff
	s_cmp_eq_u32 s9, 0
	s_cselect_b32 s3, ttmp9, s8
	s_delay_alu instid0(SALU_CYCLE_1) | instskip(SKIP_1) | instid1(VALU_DEP_1)
	v_mad_u32 v0, s3, s2, v0
	s_mov_b32 s2, exec_lo
	v_cmpx_gt_u64_e64 s[6:7], v[0:1]
	s_cbranch_execz .LBB61_2
; %bb.1:
	s_load_b64 s[0:1], s[0:1], 0x10
	v_mov_b32_e32 v2, 0x7f
	s_wait_kmcnt 0x0
	s_add_nc_u64 s[0:1], s[4:5], s[0:1]
	s_delay_alu instid0(SALU_CYCLE_1)
	v_add_nc_u64_e32 v[0:1], s[0:1], v[0:1]
	global_store_b8 v[0:1], v2, off
.LBB61_2:
	s_endpgm
	.section	.rodata,"a",@progbits
	.p2align	6, 0x0
	.amdhsa_kernel _Z11fill_kernelI18hipblaslt_bf8_fnuzZ21hipblaslt_init_deviceIS0_Ev8ABC_dims24hipblaslt_initializationbPT_mmmmmEUlmE5_EvS5_mmT0_
		.amdhsa_group_segment_fixed_size 0
		.amdhsa_private_segment_fixed_size 0
		.amdhsa_kernarg_size 288
		.amdhsa_user_sgpr_count 2
		.amdhsa_user_sgpr_dispatch_ptr 0
		.amdhsa_user_sgpr_queue_ptr 0
		.amdhsa_user_sgpr_kernarg_segment_ptr 1
		.amdhsa_user_sgpr_dispatch_id 0
		.amdhsa_user_sgpr_kernarg_preload_length 0
		.amdhsa_user_sgpr_kernarg_preload_offset 0
		.amdhsa_user_sgpr_private_segment_size 0
		.amdhsa_wavefront_size32 1
		.amdhsa_uses_dynamic_stack 0
		.amdhsa_enable_private_segment 0
		.amdhsa_system_sgpr_workgroup_id_x 1
		.amdhsa_system_sgpr_workgroup_id_y 0
		.amdhsa_system_sgpr_workgroup_id_z 0
		.amdhsa_system_sgpr_workgroup_info 0
		.amdhsa_system_vgpr_workitem_id 0
		.amdhsa_next_free_vgpr 3
		.amdhsa_next_free_sgpr 10
		.amdhsa_named_barrier_count 0
		.amdhsa_reserve_vcc 0
		.amdhsa_float_round_mode_32 0
		.amdhsa_float_round_mode_16_64 0
		.amdhsa_float_denorm_mode_32 3
		.amdhsa_float_denorm_mode_16_64 3
		.amdhsa_fp16_overflow 0
		.amdhsa_memory_ordered 1
		.amdhsa_forward_progress 1
		.amdhsa_inst_pref_size 2
		.amdhsa_round_robin_scheduling 0
		.amdhsa_exception_fp_ieee_invalid_op 0
		.amdhsa_exception_fp_denorm_src 0
		.amdhsa_exception_fp_ieee_div_zero 0
		.amdhsa_exception_fp_ieee_overflow 0
		.amdhsa_exception_fp_ieee_underflow 0
		.amdhsa_exception_fp_ieee_inexact 0
		.amdhsa_exception_int_div_zero 0
	.end_amdhsa_kernel
	.section	.text._Z11fill_kernelI18hipblaslt_bf8_fnuzZ21hipblaslt_init_deviceIS0_Ev8ABC_dims24hipblaslt_initializationbPT_mmmmmEUlmE5_EvS5_mmT0_,"axG",@progbits,_Z11fill_kernelI18hipblaslt_bf8_fnuzZ21hipblaslt_init_deviceIS0_Ev8ABC_dims24hipblaslt_initializationbPT_mmmmmEUlmE5_EvS5_mmT0_,comdat
.Lfunc_end61:
	.size	_Z11fill_kernelI18hipblaslt_bf8_fnuzZ21hipblaslt_init_deviceIS0_Ev8ABC_dims24hipblaslt_initializationbPT_mmmmmEUlmE5_EvS5_mmT0_, .Lfunc_end61-_Z11fill_kernelI18hipblaslt_bf8_fnuzZ21hipblaslt_init_deviceIS0_Ev8ABC_dims24hipblaslt_initializationbPT_mmmmmEUlmE5_EvS5_mmT0_
                                        ; -- End function
	.set _Z11fill_kernelI18hipblaslt_bf8_fnuzZ21hipblaslt_init_deviceIS0_Ev8ABC_dims24hipblaslt_initializationbPT_mmmmmEUlmE5_EvS5_mmT0_.num_vgpr, 3
	.set _Z11fill_kernelI18hipblaslt_bf8_fnuzZ21hipblaslt_init_deviceIS0_Ev8ABC_dims24hipblaslt_initializationbPT_mmmmmEUlmE5_EvS5_mmT0_.num_agpr, 0
	.set _Z11fill_kernelI18hipblaslt_bf8_fnuzZ21hipblaslt_init_deviceIS0_Ev8ABC_dims24hipblaslt_initializationbPT_mmmmmEUlmE5_EvS5_mmT0_.numbered_sgpr, 10
	.set _Z11fill_kernelI18hipblaslt_bf8_fnuzZ21hipblaslt_init_deviceIS0_Ev8ABC_dims24hipblaslt_initializationbPT_mmmmmEUlmE5_EvS5_mmT0_.num_named_barrier, 0
	.set _Z11fill_kernelI18hipblaslt_bf8_fnuzZ21hipblaslt_init_deviceIS0_Ev8ABC_dims24hipblaslt_initializationbPT_mmmmmEUlmE5_EvS5_mmT0_.private_seg_size, 0
	.set _Z11fill_kernelI18hipblaslt_bf8_fnuzZ21hipblaslt_init_deviceIS0_Ev8ABC_dims24hipblaslt_initializationbPT_mmmmmEUlmE5_EvS5_mmT0_.uses_vcc, 0
	.set _Z11fill_kernelI18hipblaslt_bf8_fnuzZ21hipblaslt_init_deviceIS0_Ev8ABC_dims24hipblaslt_initializationbPT_mmmmmEUlmE5_EvS5_mmT0_.uses_flat_scratch, 0
	.set _Z11fill_kernelI18hipblaslt_bf8_fnuzZ21hipblaslt_init_deviceIS0_Ev8ABC_dims24hipblaslt_initializationbPT_mmmmmEUlmE5_EvS5_mmT0_.has_dyn_sized_stack, 0
	.set _Z11fill_kernelI18hipblaslt_bf8_fnuzZ21hipblaslt_init_deviceIS0_Ev8ABC_dims24hipblaslt_initializationbPT_mmmmmEUlmE5_EvS5_mmT0_.has_recursion, 0
	.set _Z11fill_kernelI18hipblaslt_bf8_fnuzZ21hipblaslt_init_deviceIS0_Ev8ABC_dims24hipblaslt_initializationbPT_mmmmmEUlmE5_EvS5_mmT0_.has_indirect_call, 0
	.section	.AMDGPU.csdata,"",@progbits
; Kernel info:
; codeLenInByte = 148
; TotalNumSgprs: 10
; NumVgprs: 3
; ScratchSize: 0
; MemoryBound: 0
; FloatMode: 240
; IeeeMode: 1
; LDSByteSize: 0 bytes/workgroup (compile time only)
; SGPRBlocks: 0
; VGPRBlocks: 0
; NumSGPRsForWavesPerEU: 10
; NumVGPRsForWavesPerEU: 3
; NamedBarCnt: 0
; Occupancy: 16
; WaveLimiterHint : 0
; COMPUTE_PGM_RSRC2:SCRATCH_EN: 0
; COMPUTE_PGM_RSRC2:USER_SGPR: 2
; COMPUTE_PGM_RSRC2:TRAP_HANDLER: 0
; COMPUTE_PGM_RSRC2:TGID_X_EN: 1
; COMPUTE_PGM_RSRC2:TGID_Y_EN: 0
; COMPUTE_PGM_RSRC2:TGID_Z_EN: 0
; COMPUTE_PGM_RSRC2:TIDIG_COMP_CNT: 0
	.section	.text._Z11fill_kernelI18hipblaslt_bf8_fnuzZ21hipblaslt_init_deviceIS0_Ev8ABC_dims24hipblaslt_initializationbPT_mmmmmEUlmE6_EvS5_mmT0_,"axG",@progbits,_Z11fill_kernelI18hipblaslt_bf8_fnuzZ21hipblaslt_init_deviceIS0_Ev8ABC_dims24hipblaslt_initializationbPT_mmmmmEUlmE6_EvS5_mmT0_,comdat
	.protected	_Z11fill_kernelI18hipblaslt_bf8_fnuzZ21hipblaslt_init_deviceIS0_Ev8ABC_dims24hipblaslt_initializationbPT_mmmmmEUlmE6_EvS5_mmT0_ ; -- Begin function _Z11fill_kernelI18hipblaslt_bf8_fnuzZ21hipblaslt_init_deviceIS0_Ev8ABC_dims24hipblaslt_initializationbPT_mmmmmEUlmE6_EvS5_mmT0_
	.globl	_Z11fill_kernelI18hipblaslt_bf8_fnuzZ21hipblaslt_init_deviceIS0_Ev8ABC_dims24hipblaslt_initializationbPT_mmmmmEUlmE6_EvS5_mmT0_
	.p2align	8
	.type	_Z11fill_kernelI18hipblaslt_bf8_fnuzZ21hipblaslt_init_deviceIS0_Ev8ABC_dims24hipblaslt_initializationbPT_mmmmmEUlmE6_EvS5_mmT0_,@function
_Z11fill_kernelI18hipblaslt_bf8_fnuzZ21hipblaslt_init_deviceIS0_Ev8ABC_dims24hipblaslt_initializationbPT_mmmmmEUlmE6_EvS5_mmT0_: ; @_Z11fill_kernelI18hipblaslt_bf8_fnuzZ21hipblaslt_init_deviceIS0_Ev8ABC_dims24hipblaslt_initializationbPT_mmmmmEUlmE6_EvS5_mmT0_
; %bb.0:
	s_clause 0x1
	s_load_b32 s2, s[0:1], 0x2c
	s_load_b128 s[4:7], s[0:1], 0x0
	s_bfe_u32 s3, ttmp6, 0x4000c
	s_and_b32 s8, ttmp6, 15
	s_add_co_i32 s3, s3, 1
	s_getreg_b32 s9, hwreg(HW_REG_IB_STS2, 6, 4)
	s_mul_i32 s3, ttmp9, s3
	v_mov_b32_e32 v1, 0
	s_add_co_i32 s8, s8, s3
	s_wait_kmcnt 0x0
	s_and_b32 s2, s2, 0xffff
	s_cmp_eq_u32 s9, 0
	s_cselect_b32 s3, ttmp9, s8
	s_delay_alu instid0(SALU_CYCLE_1) | instskip(SKIP_1) | instid1(VALU_DEP_1)
	v_mad_u32 v0, s3, s2, v0
	s_mov_b32 s2, exec_lo
	v_cmpx_gt_u64_e64 s[6:7], v[0:1]
	s_cbranch_execz .LBB62_2
; %bb.1:
	s_load_b64 s[0:1], s[0:1], 0x10
	v_mov_b32_e32 v2, 8
	s_wait_kmcnt 0x0
	s_add_nc_u64 s[0:1], s[4:5], s[0:1]
	s_delay_alu instid0(SALU_CYCLE_1)
	v_add_nc_u64_e32 v[0:1], s[0:1], v[0:1]
	global_store_b8 v[0:1], v2, off
.LBB62_2:
	s_endpgm
	.section	.rodata,"a",@progbits
	.p2align	6, 0x0
	.amdhsa_kernel _Z11fill_kernelI18hipblaslt_bf8_fnuzZ21hipblaslt_init_deviceIS0_Ev8ABC_dims24hipblaslt_initializationbPT_mmmmmEUlmE6_EvS5_mmT0_
		.amdhsa_group_segment_fixed_size 0
		.amdhsa_private_segment_fixed_size 0
		.amdhsa_kernarg_size 288
		.amdhsa_user_sgpr_count 2
		.amdhsa_user_sgpr_dispatch_ptr 0
		.amdhsa_user_sgpr_queue_ptr 0
		.amdhsa_user_sgpr_kernarg_segment_ptr 1
		.amdhsa_user_sgpr_dispatch_id 0
		.amdhsa_user_sgpr_kernarg_preload_length 0
		.amdhsa_user_sgpr_kernarg_preload_offset 0
		.amdhsa_user_sgpr_private_segment_size 0
		.amdhsa_wavefront_size32 1
		.amdhsa_uses_dynamic_stack 0
		.amdhsa_enable_private_segment 0
		.amdhsa_system_sgpr_workgroup_id_x 1
		.amdhsa_system_sgpr_workgroup_id_y 0
		.amdhsa_system_sgpr_workgroup_id_z 0
		.amdhsa_system_sgpr_workgroup_info 0
		.amdhsa_system_vgpr_workitem_id 0
		.amdhsa_next_free_vgpr 3
		.amdhsa_next_free_sgpr 10
		.amdhsa_named_barrier_count 0
		.amdhsa_reserve_vcc 0
		.amdhsa_float_round_mode_32 0
		.amdhsa_float_round_mode_16_64 0
		.amdhsa_float_denorm_mode_32 3
		.amdhsa_float_denorm_mode_16_64 3
		.amdhsa_fp16_overflow 0
		.amdhsa_memory_ordered 1
		.amdhsa_forward_progress 1
		.amdhsa_inst_pref_size 2
		.amdhsa_round_robin_scheduling 0
		.amdhsa_exception_fp_ieee_invalid_op 0
		.amdhsa_exception_fp_denorm_src 0
		.amdhsa_exception_fp_ieee_div_zero 0
		.amdhsa_exception_fp_ieee_overflow 0
		.amdhsa_exception_fp_ieee_underflow 0
		.amdhsa_exception_fp_ieee_inexact 0
		.amdhsa_exception_int_div_zero 0
	.end_amdhsa_kernel
	.section	.text._Z11fill_kernelI18hipblaslt_bf8_fnuzZ21hipblaslt_init_deviceIS0_Ev8ABC_dims24hipblaslt_initializationbPT_mmmmmEUlmE6_EvS5_mmT0_,"axG",@progbits,_Z11fill_kernelI18hipblaslt_bf8_fnuzZ21hipblaslt_init_deviceIS0_Ev8ABC_dims24hipblaslt_initializationbPT_mmmmmEUlmE6_EvS5_mmT0_,comdat
.Lfunc_end62:
	.size	_Z11fill_kernelI18hipblaslt_bf8_fnuzZ21hipblaslt_init_deviceIS0_Ev8ABC_dims24hipblaslt_initializationbPT_mmmmmEUlmE6_EvS5_mmT0_, .Lfunc_end62-_Z11fill_kernelI18hipblaslt_bf8_fnuzZ21hipblaslt_init_deviceIS0_Ev8ABC_dims24hipblaslt_initializationbPT_mmmmmEUlmE6_EvS5_mmT0_
                                        ; -- End function
	.set _Z11fill_kernelI18hipblaslt_bf8_fnuzZ21hipblaslt_init_deviceIS0_Ev8ABC_dims24hipblaslt_initializationbPT_mmmmmEUlmE6_EvS5_mmT0_.num_vgpr, 3
	.set _Z11fill_kernelI18hipblaslt_bf8_fnuzZ21hipblaslt_init_deviceIS0_Ev8ABC_dims24hipblaslt_initializationbPT_mmmmmEUlmE6_EvS5_mmT0_.num_agpr, 0
	.set _Z11fill_kernelI18hipblaslt_bf8_fnuzZ21hipblaslt_init_deviceIS0_Ev8ABC_dims24hipblaslt_initializationbPT_mmmmmEUlmE6_EvS5_mmT0_.numbered_sgpr, 10
	.set _Z11fill_kernelI18hipblaslt_bf8_fnuzZ21hipblaslt_init_deviceIS0_Ev8ABC_dims24hipblaslt_initializationbPT_mmmmmEUlmE6_EvS5_mmT0_.num_named_barrier, 0
	.set _Z11fill_kernelI18hipblaslt_bf8_fnuzZ21hipblaslt_init_deviceIS0_Ev8ABC_dims24hipblaslt_initializationbPT_mmmmmEUlmE6_EvS5_mmT0_.private_seg_size, 0
	.set _Z11fill_kernelI18hipblaslt_bf8_fnuzZ21hipblaslt_init_deviceIS0_Ev8ABC_dims24hipblaslt_initializationbPT_mmmmmEUlmE6_EvS5_mmT0_.uses_vcc, 0
	.set _Z11fill_kernelI18hipblaslt_bf8_fnuzZ21hipblaslt_init_deviceIS0_Ev8ABC_dims24hipblaslt_initializationbPT_mmmmmEUlmE6_EvS5_mmT0_.uses_flat_scratch, 0
	.set _Z11fill_kernelI18hipblaslt_bf8_fnuzZ21hipblaslt_init_deviceIS0_Ev8ABC_dims24hipblaslt_initializationbPT_mmmmmEUlmE6_EvS5_mmT0_.has_dyn_sized_stack, 0
	.set _Z11fill_kernelI18hipblaslt_bf8_fnuzZ21hipblaslt_init_deviceIS0_Ev8ABC_dims24hipblaslt_initializationbPT_mmmmmEUlmE6_EvS5_mmT0_.has_recursion, 0
	.set _Z11fill_kernelI18hipblaslt_bf8_fnuzZ21hipblaslt_init_deviceIS0_Ev8ABC_dims24hipblaslt_initializationbPT_mmmmmEUlmE6_EvS5_mmT0_.has_indirect_call, 0
	.section	.AMDGPU.csdata,"",@progbits
; Kernel info:
; codeLenInByte = 144
; TotalNumSgprs: 10
; NumVgprs: 3
; ScratchSize: 0
; MemoryBound: 0
; FloatMode: 240
; IeeeMode: 1
; LDSByteSize: 0 bytes/workgroup (compile time only)
; SGPRBlocks: 0
; VGPRBlocks: 0
; NumSGPRsForWavesPerEU: 10
; NumVGPRsForWavesPerEU: 3
; NamedBarCnt: 0
; Occupancy: 16
; WaveLimiterHint : 0
; COMPUTE_PGM_RSRC2:SCRATCH_EN: 0
; COMPUTE_PGM_RSRC2:USER_SGPR: 2
; COMPUTE_PGM_RSRC2:TRAP_HANDLER: 0
; COMPUTE_PGM_RSRC2:TGID_X_EN: 1
; COMPUTE_PGM_RSRC2:TGID_Y_EN: 0
; COMPUTE_PGM_RSRC2:TGID_Z_EN: 0
; COMPUTE_PGM_RSRC2:TIDIG_COMP_CNT: 0
	.section	.text._Z11fill_kernelI18hipblaslt_bf8_fnuzZ21hipblaslt_init_deviceIS0_Ev8ABC_dims24hipblaslt_initializationbPT_mmmmmEUlmE7_EvS5_mmT0_,"axG",@progbits,_Z11fill_kernelI18hipblaslt_bf8_fnuzZ21hipblaslt_init_deviceIS0_Ev8ABC_dims24hipblaslt_initializationbPT_mmmmmEUlmE7_EvS5_mmT0_,comdat
	.protected	_Z11fill_kernelI18hipblaslt_bf8_fnuzZ21hipblaslt_init_deviceIS0_Ev8ABC_dims24hipblaslt_initializationbPT_mmmmmEUlmE7_EvS5_mmT0_ ; -- Begin function _Z11fill_kernelI18hipblaslt_bf8_fnuzZ21hipblaslt_init_deviceIS0_Ev8ABC_dims24hipblaslt_initializationbPT_mmmmmEUlmE7_EvS5_mmT0_
	.globl	_Z11fill_kernelI18hipblaslt_bf8_fnuzZ21hipblaslt_init_deviceIS0_Ev8ABC_dims24hipblaslt_initializationbPT_mmmmmEUlmE7_EvS5_mmT0_
	.p2align	8
	.type	_Z11fill_kernelI18hipblaslt_bf8_fnuzZ21hipblaslt_init_deviceIS0_Ev8ABC_dims24hipblaslt_initializationbPT_mmmmmEUlmE7_EvS5_mmT0_,@function
_Z11fill_kernelI18hipblaslt_bf8_fnuzZ21hipblaslt_init_deviceIS0_Ev8ABC_dims24hipblaslt_initializationbPT_mmmmmEUlmE7_EvS5_mmT0_: ; @_Z11fill_kernelI18hipblaslt_bf8_fnuzZ21hipblaslt_init_deviceIS0_Ev8ABC_dims24hipblaslt_initializationbPT_mmmmmEUlmE7_EvS5_mmT0_
; %bb.0:
	s_clause 0x1
	s_load_b32 s2, s[0:1], 0x2c
	s_load_b128 s[4:7], s[0:1], 0x0
	s_bfe_u32 s3, ttmp6, 0x4000c
	s_and_b32 s8, ttmp6, 15
	s_add_co_i32 s3, s3, 1
	s_getreg_b32 s9, hwreg(HW_REG_IB_STS2, 6, 4)
	s_mul_i32 s3, ttmp9, s3
	v_mov_b32_e32 v3, 0
	s_add_co_i32 s8, s8, s3
	s_wait_kmcnt 0x0
	s_and_b32 s2, s2, 0xffff
	s_cmp_eq_u32 s9, 0
	s_cselect_b32 s3, ttmp9, s8
	s_delay_alu instid0(SALU_CYCLE_1) | instskip(SKIP_1) | instid1(VALU_DEP_1)
	v_mad_u32 v2, s3, s2, v0
	s_mov_b32 s2, exec_lo
	v_cmpx_gt_u64_e64 s[6:7], v[2:3]
	s_cbranch_execz .LBB63_10
; %bb.1:
	s_load_b64 s[0:1], s[0:1], 0x10
	s_wait_kmcnt 0x0
	v_add_nc_u64_e32 v[0:1], s[0:1], v[2:3]
	s_mov_b32 s0, 0x19660d
	s_delay_alu instid0(VALU_DEP_1) | instid1(SALU_CYCLE_1)
	v_mad_nc_u64_u32 v[4:5], v0, s0, 0x3c6ef35f
	s_delay_alu instid0(VALU_DEP_1) | instskip(NEXT) | instid1(VALU_DEP_1)
	v_mad_u32 v5, 0x19660d, v1, v5
	v_lshlrev_b64_e32 v[6:7], 13, v[4:5]
	s_delay_alu instid0(VALU_DEP_1) | instskip(NEXT) | instid1(VALU_DEP_2)
	v_xor_b32_e32 v5, v7, v5
	v_xor_b32_e32 v4, v6, v4
	s_delay_alu instid0(VALU_DEP_1) | instskip(NEXT) | instid1(VALU_DEP_1)
	v_lshrrev_b64 v[6:7], 17, v[4:5]
	v_xor_b32_e32 v5, v7, v5
	s_delay_alu instid0(VALU_DEP_2) | instskip(NEXT) | instid1(VALU_DEP_1)
	v_xor_b32_e32 v4, v6, v4
	v_lshlrev_b64_e32 v[6:7], 5, v[4:5]
	s_delay_alu instid0(VALU_DEP_1) | instskip(NEXT) | instid1(VALU_DEP_2)
	v_xor_b32_e32 v5, v7, v5
	v_xor_b32_e32 v4, v6, v4
	s_delay_alu instid0(VALU_DEP_1) | instskip(NEXT) | instid1(VALU_DEP_1)
	v_lshlrev_b64_e32 v[6:7], 13, v[4:5]
	v_xor_b32_e32 v5, v7, v5
	s_delay_alu instid0(VALU_DEP_2) | instskip(NEXT) | instid1(VALU_DEP_1)
	v_xor_b32_e32 v4, v6, v4
	v_lshrrev_b64 v[6:7], 17, v[4:5]
	s_delay_alu instid0(VALU_DEP_1) | instskip(NEXT) | instid1(VALU_DEP_2)
	v_xor_b32_e32 v5, v7, v5
	v_xor_b32_e32 v4, v6, v4
	s_delay_alu instid0(VALU_DEP_1) | instskip(NEXT) | instid1(VALU_DEP_1)
	v_lshlrev_b64_e32 v[6:7], 5, v[4:5]
	v_xor_b32_e32 v5, v7, v5
	s_delay_alu instid0(VALU_DEP_2) | instskip(NEXT) | instid1(VALU_DEP_1)
	v_xor_b32_e32 v4, v6, v4
	v_lshlrev_b64_e32 v[6:7], 13, v[4:5]
	s_delay_alu instid0(VALU_DEP_1) | instskip(NEXT) | instid1(VALU_DEP_2)
	v_xor_b32_e32 v2, v7, v5
	v_xor_b32_e32 v4, v6, v4
	s_delay_alu instid0(VALU_DEP_1) | instskip(NEXT) | instid1(VALU_DEP_1)
	v_alignbit_b32 v2, v2, v4, 17
	v_xor_b32_e32 v2, v2, v4
	s_delay_alu instid0(VALU_DEP_1) | instskip(NEXT) | instid1(VALU_DEP_1)
	v_lshlrev_b32_e32 v4, 5, v2
	v_xor_b32_e32 v2, v4, v2
	s_delay_alu instid0(VALU_DEP_1) | instskip(NEXT) | instid1(VALU_DEP_1)
	v_mul_hi_u32 v4, 0xcccccccd, v2
	v_lshrrev_b32_e32 v4, 3, v4
	s_delay_alu instid0(VALU_DEP_1) | instskip(NEXT) | instid1(VALU_DEP_1)
	v_mul_lo_u32 v4, v4, 10
	v_sub_nc_u32_e32 v2, v2, v4
	s_delay_alu instid0(VALU_DEP_1) | instskip(NEXT) | instid1(VALU_DEP_1)
	v_add_nc_u32_e32 v2, 1, v2
	v_cvt_f32_u32_e32 v4, v2
	s_delay_alu instid0(VALU_DEP_1) | instskip(NEXT) | instid1(VALU_DEP_1)
	v_and_b32_e32 v2, 0x7f800000, v4
	v_cmp_ne_u64_e32 vcc_lo, 0x7f800000, v[2:3]
	v_mov_b32_e32 v2, 0x80
	s_and_saveexec_b32 s2, vcc_lo
	s_cbranch_execz .LBB63_9
; %bb.2:
	v_mov_b32_e32 v2, 0x7f
	s_mov_b32 s3, exec_lo
	v_cmpx_gt_u32_e32 0x47600001, v4
	s_cbranch_execz .LBB63_8
; %bb.3:
	v_lshrrev_b32_e32 v10, 23, v4
	v_and_b32_e32 v5, 0x7fffff, v4
	v_cmp_gt_u32_e32 vcc_lo, 0x800000, v4
	s_delay_alu instid0(VALU_DEP_3) | instskip(NEXT) | instid1(VALU_DEP_1)
	v_sub_nc_u32_e64 v2, 0x70, v10 clamp
	v_cndmask_b32_e64 v11, v2, 0x6f, vcc_lo
	s_delay_alu instid0(VALU_DEP_4) | instskip(NEXT) | instid1(VALU_DEP_2)
	v_or_b32_e32 v2, 0x800000, v5
	v_dual_mov_b32 v3, 0 :: v_dual_add_nc_u32 v4, 21, v11
	s_delay_alu instid0(VALU_DEP_2) | instskip(NEXT) | instid1(VALU_DEP_2)
	v_cndmask_b32_e32 v2, v2, v5, vcc_lo
	v_lshlrev_b64_e64 v[4:5], v4, -1
	s_delay_alu instid0(VALU_DEP_2) | instskip(SKIP_2) | instid1(VALU_DEP_2)
	v_lshrrev_b64 v[8:9], v11, v[2:3]
	v_add_nc_u32_e32 v6, 20, v11
	v_add_nc_u32_e32 v9, 0xffffff91, v10
	v_lshlrev_b64_e64 v[6:7], v6, 1
	v_bfi_b32 v5, v5, 0, 0
	v_bfi_b32 v4, v4, 0, v2
	v_and_b32_e32 v2, 0x200000, v8
	s_delay_alu instid0(VALU_DEP_2) | instskip(NEXT) | instid1(VALU_DEP_2)
	v_cmp_eq_u64_e64 s0, v[4:5], v[6:7]
	v_cmp_eq_u64_e64 s1, 0, v[2:3]
	v_cndmask_b32_e64 v2, v9, 0xffffff92, vcc_lo
	v_lshrrev_b32_e32 v4, 23, v8
	s_delay_alu instid0(VALU_DEP_1) | instskip(SKIP_3) | instid1(VALU_DEP_1)
	v_add3_u32 v5, v2, v11, v4
	s_and_b32 vcc_lo, s1, s0
	s_mov_b32 s0, exec_lo
	v_subrev_co_ci_u32_e64 v6, null, 0, v8, vcc_lo
                                        ; implicit-def: $vgpr4
	v_and_b32_e32 v2, 0x1fffff, v6
	s_delay_alu instid0(VALU_DEP_1) | instskip(NEXT) | instid1(VALU_DEP_1)
	v_dual_add_nc_u32 v6, -1, v5 :: v_dual_add_nc_u32 v2, v2, v8
	v_cmpx_ne_u32_e32 0, v6
	s_xor_b32 s0, exec_lo, s0
	s_cbranch_execz .LBB63_5
; %bb.4:
	s_delay_alu instid0(VALU_DEP_2) | instskip(SKIP_2) | instid1(VALU_DEP_2)
	v_and_b32_e32 v8, 0x1000000, v2
	v_mov_b32_e32 v9, v3
	v_bfe_u32 v4, v2, 24, 1
	v_cmp_eq_u64_e32 vcc_lo, 0, v[8:9]
	s_delay_alu instid0(VALU_DEP_2)
	v_lshrrev_b64 v[2:3], v4, v[2:3]
	v_cndmask_b32_e32 v4, v5, v6, vcc_lo
.LBB63_5:
	s_and_not1_saveexec_b32 s0, s0
; %bb.6:
	s_delay_alu instid0(VALU_DEP_2)
	v_bfe_u32 v4, v2, 23, 1
; %bb.7:
	s_or_b32 exec_lo, exec_lo, s0
	s_delay_alu instid0(VALU_DEP_3) | instskip(NEXT) | instid1(VALU_DEP_2)
	v_lshrrev_b64 v[2:3], 21, v[2:3]
	v_cmp_gt_i32_e32 vcc_lo, 32, v4
	v_min_i32_e32 v5, 31, v4
	v_cmp_eq_u32_e64 s0, 0, v4
	s_delay_alu instid0(VALU_DEP_4) | instskip(NEXT) | instid1(VALU_DEP_3)
	v_dual_cndmask_b32 v3, 0, v3 :: v_dual_cndmask_b32 v2, 3, v2
	v_lshlrev_b32_e32 v5, 2, v5
	s_delay_alu instid0(VALU_DEP_2) | instskip(NEXT) | instid1(VALU_DEP_2)
	v_cmp_eq_u64_e32 vcc_lo, 0, v[2:3]
	v_and_or_b32 v2, v2, 3, v5
	s_and_b32 s0, s0, vcc_lo
	s_delay_alu instid0(VALU_DEP_1) | instid1(SALU_CYCLE_1)
	v_cndmask_b32_e64 v2, v2, 0, s0
.LBB63_8:
	s_or_b32 exec_lo, exec_lo, s3
.LBB63_9:
	s_delay_alu instid0(SALU_CYCLE_1)
	s_or_b32 exec_lo, exec_lo, s2
	v_add_nc_u64_e32 v[0:1], s[4:5], v[0:1]
	global_store_b8 v[0:1], v2, off
.LBB63_10:
	s_endpgm
	.section	.rodata,"a",@progbits
	.p2align	6, 0x0
	.amdhsa_kernel _Z11fill_kernelI18hipblaslt_bf8_fnuzZ21hipblaslt_init_deviceIS0_Ev8ABC_dims24hipblaslt_initializationbPT_mmmmmEUlmE7_EvS5_mmT0_
		.amdhsa_group_segment_fixed_size 0
		.amdhsa_private_segment_fixed_size 0
		.amdhsa_kernarg_size 288
		.amdhsa_user_sgpr_count 2
		.amdhsa_user_sgpr_dispatch_ptr 0
		.amdhsa_user_sgpr_queue_ptr 0
		.amdhsa_user_sgpr_kernarg_segment_ptr 1
		.amdhsa_user_sgpr_dispatch_id 0
		.amdhsa_user_sgpr_kernarg_preload_length 0
		.amdhsa_user_sgpr_kernarg_preload_offset 0
		.amdhsa_user_sgpr_private_segment_size 0
		.amdhsa_wavefront_size32 1
		.amdhsa_uses_dynamic_stack 0
		.amdhsa_enable_private_segment 0
		.amdhsa_system_sgpr_workgroup_id_x 1
		.amdhsa_system_sgpr_workgroup_id_y 0
		.amdhsa_system_sgpr_workgroup_id_z 0
		.amdhsa_system_sgpr_workgroup_info 0
		.amdhsa_system_vgpr_workitem_id 0
		.amdhsa_next_free_vgpr 12
		.amdhsa_next_free_sgpr 10
		.amdhsa_named_barrier_count 0
		.amdhsa_reserve_vcc 1
		.amdhsa_float_round_mode_32 0
		.amdhsa_float_round_mode_16_64 0
		.amdhsa_float_denorm_mode_32 3
		.amdhsa_float_denorm_mode_16_64 3
		.amdhsa_fp16_overflow 0
		.amdhsa_memory_ordered 1
		.amdhsa_forward_progress 1
		.amdhsa_inst_pref_size 7
		.amdhsa_round_robin_scheduling 0
		.amdhsa_exception_fp_ieee_invalid_op 0
		.amdhsa_exception_fp_denorm_src 0
		.amdhsa_exception_fp_ieee_div_zero 0
		.amdhsa_exception_fp_ieee_overflow 0
		.amdhsa_exception_fp_ieee_underflow 0
		.amdhsa_exception_fp_ieee_inexact 0
		.amdhsa_exception_int_div_zero 0
	.end_amdhsa_kernel
	.section	.text._Z11fill_kernelI18hipblaslt_bf8_fnuzZ21hipblaslt_init_deviceIS0_Ev8ABC_dims24hipblaslt_initializationbPT_mmmmmEUlmE7_EvS5_mmT0_,"axG",@progbits,_Z11fill_kernelI18hipblaslt_bf8_fnuzZ21hipblaslt_init_deviceIS0_Ev8ABC_dims24hipblaslt_initializationbPT_mmmmmEUlmE7_EvS5_mmT0_,comdat
.Lfunc_end63:
	.size	_Z11fill_kernelI18hipblaslt_bf8_fnuzZ21hipblaslt_init_deviceIS0_Ev8ABC_dims24hipblaslt_initializationbPT_mmmmmEUlmE7_EvS5_mmT0_, .Lfunc_end63-_Z11fill_kernelI18hipblaslt_bf8_fnuzZ21hipblaslt_init_deviceIS0_Ev8ABC_dims24hipblaslt_initializationbPT_mmmmmEUlmE7_EvS5_mmT0_
                                        ; -- End function
	.set _Z11fill_kernelI18hipblaslt_bf8_fnuzZ21hipblaslt_init_deviceIS0_Ev8ABC_dims24hipblaslt_initializationbPT_mmmmmEUlmE7_EvS5_mmT0_.num_vgpr, 12
	.set _Z11fill_kernelI18hipblaslt_bf8_fnuzZ21hipblaslt_init_deviceIS0_Ev8ABC_dims24hipblaslt_initializationbPT_mmmmmEUlmE7_EvS5_mmT0_.num_agpr, 0
	.set _Z11fill_kernelI18hipblaslt_bf8_fnuzZ21hipblaslt_init_deviceIS0_Ev8ABC_dims24hipblaslt_initializationbPT_mmmmmEUlmE7_EvS5_mmT0_.numbered_sgpr, 10
	.set _Z11fill_kernelI18hipblaslt_bf8_fnuzZ21hipblaslt_init_deviceIS0_Ev8ABC_dims24hipblaslt_initializationbPT_mmmmmEUlmE7_EvS5_mmT0_.num_named_barrier, 0
	.set _Z11fill_kernelI18hipblaslt_bf8_fnuzZ21hipblaslt_init_deviceIS0_Ev8ABC_dims24hipblaslt_initializationbPT_mmmmmEUlmE7_EvS5_mmT0_.private_seg_size, 0
	.set _Z11fill_kernelI18hipblaslt_bf8_fnuzZ21hipblaslt_init_deviceIS0_Ev8ABC_dims24hipblaslt_initializationbPT_mmmmmEUlmE7_EvS5_mmT0_.uses_vcc, 1
	.set _Z11fill_kernelI18hipblaslt_bf8_fnuzZ21hipblaslt_init_deviceIS0_Ev8ABC_dims24hipblaslt_initializationbPT_mmmmmEUlmE7_EvS5_mmT0_.uses_flat_scratch, 0
	.set _Z11fill_kernelI18hipblaslt_bf8_fnuzZ21hipblaslt_init_deviceIS0_Ev8ABC_dims24hipblaslt_initializationbPT_mmmmmEUlmE7_EvS5_mmT0_.has_dyn_sized_stack, 0
	.set _Z11fill_kernelI18hipblaslt_bf8_fnuzZ21hipblaslt_init_deviceIS0_Ev8ABC_dims24hipblaslt_initializationbPT_mmmmmEUlmE7_EvS5_mmT0_.has_recursion, 0
	.set _Z11fill_kernelI18hipblaslt_bf8_fnuzZ21hipblaslt_init_deviceIS0_Ev8ABC_dims24hipblaslt_initializationbPT_mmmmmEUlmE7_EvS5_mmT0_.has_indirect_call, 0
	.section	.AMDGPU.csdata,"",@progbits
; Kernel info:
; codeLenInByte = 836
; TotalNumSgprs: 12
; NumVgprs: 12
; ScratchSize: 0
; MemoryBound: 0
; FloatMode: 240
; IeeeMode: 1
; LDSByteSize: 0 bytes/workgroup (compile time only)
; SGPRBlocks: 0
; VGPRBlocks: 0
; NumSGPRsForWavesPerEU: 12
; NumVGPRsForWavesPerEU: 12
; NamedBarCnt: 0
; Occupancy: 16
; WaveLimiterHint : 0
; COMPUTE_PGM_RSRC2:SCRATCH_EN: 0
; COMPUTE_PGM_RSRC2:USER_SGPR: 2
; COMPUTE_PGM_RSRC2:TRAP_HANDLER: 0
; COMPUTE_PGM_RSRC2:TGID_X_EN: 1
; COMPUTE_PGM_RSRC2:TGID_Y_EN: 0
; COMPUTE_PGM_RSRC2:TGID_Z_EN: 0
; COMPUTE_PGM_RSRC2:TIDIG_COMP_CNT: 0
	.section	.text._Z11fill_kernelI18hipblaslt_bf8_fnuzZ21hipblaslt_init_deviceIS0_Ev8ABC_dims24hipblaslt_initializationbPT_mmmmmEUlmE8_EvS5_mmT0_,"axG",@progbits,_Z11fill_kernelI18hipblaslt_bf8_fnuzZ21hipblaslt_init_deviceIS0_Ev8ABC_dims24hipblaslt_initializationbPT_mmmmmEUlmE8_EvS5_mmT0_,comdat
	.protected	_Z11fill_kernelI18hipblaslt_bf8_fnuzZ21hipblaslt_init_deviceIS0_Ev8ABC_dims24hipblaslt_initializationbPT_mmmmmEUlmE8_EvS5_mmT0_ ; -- Begin function _Z11fill_kernelI18hipblaslt_bf8_fnuzZ21hipblaslt_init_deviceIS0_Ev8ABC_dims24hipblaslt_initializationbPT_mmmmmEUlmE8_EvS5_mmT0_
	.globl	_Z11fill_kernelI18hipblaslt_bf8_fnuzZ21hipblaslt_init_deviceIS0_Ev8ABC_dims24hipblaslt_initializationbPT_mmmmmEUlmE8_EvS5_mmT0_
	.p2align	8
	.type	_Z11fill_kernelI18hipblaslt_bf8_fnuzZ21hipblaslt_init_deviceIS0_Ev8ABC_dims24hipblaslt_initializationbPT_mmmmmEUlmE8_EvS5_mmT0_,@function
_Z11fill_kernelI18hipblaslt_bf8_fnuzZ21hipblaslt_init_deviceIS0_Ev8ABC_dims24hipblaslt_initializationbPT_mmmmmEUlmE8_EvS5_mmT0_: ; @_Z11fill_kernelI18hipblaslt_bf8_fnuzZ21hipblaslt_init_deviceIS0_Ev8ABC_dims24hipblaslt_initializationbPT_mmmmmEUlmE8_EvS5_mmT0_
; %bb.0:
	s_clause 0x1
	s_load_b32 s2, s[0:1], 0x2c
	s_load_b128 s[4:7], s[0:1], 0x0
	s_bfe_u32 s3, ttmp6, 0x4000c
	s_and_b32 s8, ttmp6, 15
	s_add_co_i32 s3, s3, 1
	s_getreg_b32 s9, hwreg(HW_REG_IB_STS2, 6, 4)
	s_mul_i32 s3, ttmp9, s3
	v_mov_b32_e32 v1, 0
	s_add_co_i32 s8, s8, s3
	s_wait_kmcnt 0x0
	s_and_b32 s2, s2, 0xffff
	s_cmp_eq_u32 s9, 0
	s_cselect_b32 s3, ttmp9, s8
	s_delay_alu instid0(SALU_CYCLE_1) | instskip(SKIP_1) | instid1(VALU_DEP_1)
	v_mad_u32 v0, s3, s2, v0
	s_mov_b32 s2, exec_lo
	v_cmpx_gt_u64_e64 s[6:7], v[0:1]
	s_cbranch_execz .LBB64_2
; %bb.1:
	s_load_b64 s[0:1], s[0:1], 0x10
	s_wait_kmcnt 0x0
	s_add_nc_u64 s[0:1], s[4:5], s[0:1]
	s_delay_alu instid0(SALU_CYCLE_1)
	v_add_nc_u64_e32 v[2:3], s[0:1], v[0:1]
	global_store_b8 v[2:3], v1, off
.LBB64_2:
	s_endpgm
	.section	.rodata,"a",@progbits
	.p2align	6, 0x0
	.amdhsa_kernel _Z11fill_kernelI18hipblaslt_bf8_fnuzZ21hipblaslt_init_deviceIS0_Ev8ABC_dims24hipblaslt_initializationbPT_mmmmmEUlmE8_EvS5_mmT0_
		.amdhsa_group_segment_fixed_size 0
		.amdhsa_private_segment_fixed_size 0
		.amdhsa_kernarg_size 288
		.amdhsa_user_sgpr_count 2
		.amdhsa_user_sgpr_dispatch_ptr 0
		.amdhsa_user_sgpr_queue_ptr 0
		.amdhsa_user_sgpr_kernarg_segment_ptr 1
		.amdhsa_user_sgpr_dispatch_id 0
		.amdhsa_user_sgpr_kernarg_preload_length 0
		.amdhsa_user_sgpr_kernarg_preload_offset 0
		.amdhsa_user_sgpr_private_segment_size 0
		.amdhsa_wavefront_size32 1
		.amdhsa_uses_dynamic_stack 0
		.amdhsa_enable_private_segment 0
		.amdhsa_system_sgpr_workgroup_id_x 1
		.amdhsa_system_sgpr_workgroup_id_y 0
		.amdhsa_system_sgpr_workgroup_id_z 0
		.amdhsa_system_sgpr_workgroup_info 0
		.amdhsa_system_vgpr_workitem_id 0
		.amdhsa_next_free_vgpr 4
		.amdhsa_next_free_sgpr 10
		.amdhsa_named_barrier_count 0
		.amdhsa_reserve_vcc 0
		.amdhsa_float_round_mode_32 0
		.amdhsa_float_round_mode_16_64 0
		.amdhsa_float_denorm_mode_32 3
		.amdhsa_float_denorm_mode_16_64 3
		.amdhsa_fp16_overflow 0
		.amdhsa_memory_ordered 1
		.amdhsa_forward_progress 1
		.amdhsa_inst_pref_size 2
		.amdhsa_round_robin_scheduling 0
		.amdhsa_exception_fp_ieee_invalid_op 0
		.amdhsa_exception_fp_denorm_src 0
		.amdhsa_exception_fp_ieee_div_zero 0
		.amdhsa_exception_fp_ieee_overflow 0
		.amdhsa_exception_fp_ieee_underflow 0
		.amdhsa_exception_fp_ieee_inexact 0
		.amdhsa_exception_int_div_zero 0
	.end_amdhsa_kernel
	.section	.text._Z11fill_kernelI18hipblaslt_bf8_fnuzZ21hipblaslt_init_deviceIS0_Ev8ABC_dims24hipblaslt_initializationbPT_mmmmmEUlmE8_EvS5_mmT0_,"axG",@progbits,_Z11fill_kernelI18hipblaslt_bf8_fnuzZ21hipblaslt_init_deviceIS0_Ev8ABC_dims24hipblaslt_initializationbPT_mmmmmEUlmE8_EvS5_mmT0_,comdat
.Lfunc_end64:
	.size	_Z11fill_kernelI18hipblaslt_bf8_fnuzZ21hipblaslt_init_deviceIS0_Ev8ABC_dims24hipblaslt_initializationbPT_mmmmmEUlmE8_EvS5_mmT0_, .Lfunc_end64-_Z11fill_kernelI18hipblaslt_bf8_fnuzZ21hipblaslt_init_deviceIS0_Ev8ABC_dims24hipblaslt_initializationbPT_mmmmmEUlmE8_EvS5_mmT0_
                                        ; -- End function
	.set _Z11fill_kernelI18hipblaslt_bf8_fnuzZ21hipblaslt_init_deviceIS0_Ev8ABC_dims24hipblaslt_initializationbPT_mmmmmEUlmE8_EvS5_mmT0_.num_vgpr, 4
	.set _Z11fill_kernelI18hipblaslt_bf8_fnuzZ21hipblaslt_init_deviceIS0_Ev8ABC_dims24hipblaslt_initializationbPT_mmmmmEUlmE8_EvS5_mmT0_.num_agpr, 0
	.set _Z11fill_kernelI18hipblaslt_bf8_fnuzZ21hipblaslt_init_deviceIS0_Ev8ABC_dims24hipblaslt_initializationbPT_mmmmmEUlmE8_EvS5_mmT0_.numbered_sgpr, 10
	.set _Z11fill_kernelI18hipblaslt_bf8_fnuzZ21hipblaslt_init_deviceIS0_Ev8ABC_dims24hipblaslt_initializationbPT_mmmmmEUlmE8_EvS5_mmT0_.num_named_barrier, 0
	.set _Z11fill_kernelI18hipblaslt_bf8_fnuzZ21hipblaslt_init_deviceIS0_Ev8ABC_dims24hipblaslt_initializationbPT_mmmmmEUlmE8_EvS5_mmT0_.private_seg_size, 0
	.set _Z11fill_kernelI18hipblaslt_bf8_fnuzZ21hipblaslt_init_deviceIS0_Ev8ABC_dims24hipblaslt_initializationbPT_mmmmmEUlmE8_EvS5_mmT0_.uses_vcc, 0
	.set _Z11fill_kernelI18hipblaslt_bf8_fnuzZ21hipblaslt_init_deviceIS0_Ev8ABC_dims24hipblaslt_initializationbPT_mmmmmEUlmE8_EvS5_mmT0_.uses_flat_scratch, 0
	.set _Z11fill_kernelI18hipblaslt_bf8_fnuzZ21hipblaslt_init_deviceIS0_Ev8ABC_dims24hipblaslt_initializationbPT_mmmmmEUlmE8_EvS5_mmT0_.has_dyn_sized_stack, 0
	.set _Z11fill_kernelI18hipblaslt_bf8_fnuzZ21hipblaslt_init_deviceIS0_Ev8ABC_dims24hipblaslt_initializationbPT_mmmmmEUlmE8_EvS5_mmT0_.has_recursion, 0
	.set _Z11fill_kernelI18hipblaslt_bf8_fnuzZ21hipblaslt_init_deviceIS0_Ev8ABC_dims24hipblaslt_initializationbPT_mmmmmEUlmE8_EvS5_mmT0_.has_indirect_call, 0
	.section	.AMDGPU.csdata,"",@progbits
; Kernel info:
; codeLenInByte = 140
; TotalNumSgprs: 10
; NumVgprs: 4
; ScratchSize: 0
; MemoryBound: 0
; FloatMode: 240
; IeeeMode: 1
; LDSByteSize: 0 bytes/workgroup (compile time only)
; SGPRBlocks: 0
; VGPRBlocks: 0
; NumSGPRsForWavesPerEU: 10
; NumVGPRsForWavesPerEU: 4
; NamedBarCnt: 0
; Occupancy: 16
; WaveLimiterHint : 0
; COMPUTE_PGM_RSRC2:SCRATCH_EN: 0
; COMPUTE_PGM_RSRC2:USER_SGPR: 2
; COMPUTE_PGM_RSRC2:TRAP_HANDLER: 0
; COMPUTE_PGM_RSRC2:TGID_X_EN: 1
; COMPUTE_PGM_RSRC2:TGID_Y_EN: 0
; COMPUTE_PGM_RSRC2:TGID_Z_EN: 0
; COMPUTE_PGM_RSRC2:TIDIG_COMP_CNT: 0
	.section	.text._Z11fill_kernelI18hipblaslt_bf8_fnuzZ21hipblaslt_init_deviceIS0_Ev8ABC_dims24hipblaslt_initializationbPT_mmmmmEUlmE9_EvS5_mmT0_,"axG",@progbits,_Z11fill_kernelI18hipblaslt_bf8_fnuzZ21hipblaslt_init_deviceIS0_Ev8ABC_dims24hipblaslt_initializationbPT_mmmmmEUlmE9_EvS5_mmT0_,comdat
	.protected	_Z11fill_kernelI18hipblaslt_bf8_fnuzZ21hipblaslt_init_deviceIS0_Ev8ABC_dims24hipblaslt_initializationbPT_mmmmmEUlmE9_EvS5_mmT0_ ; -- Begin function _Z11fill_kernelI18hipblaslt_bf8_fnuzZ21hipblaslt_init_deviceIS0_Ev8ABC_dims24hipblaslt_initializationbPT_mmmmmEUlmE9_EvS5_mmT0_
	.globl	_Z11fill_kernelI18hipblaslt_bf8_fnuzZ21hipblaslt_init_deviceIS0_Ev8ABC_dims24hipblaslt_initializationbPT_mmmmmEUlmE9_EvS5_mmT0_
	.p2align	8
	.type	_Z11fill_kernelI18hipblaslt_bf8_fnuzZ21hipblaslt_init_deviceIS0_Ev8ABC_dims24hipblaslt_initializationbPT_mmmmmEUlmE9_EvS5_mmT0_,@function
_Z11fill_kernelI18hipblaslt_bf8_fnuzZ21hipblaslt_init_deviceIS0_Ev8ABC_dims24hipblaslt_initializationbPT_mmmmmEUlmE9_EvS5_mmT0_: ; @_Z11fill_kernelI18hipblaslt_bf8_fnuzZ21hipblaslt_init_deviceIS0_Ev8ABC_dims24hipblaslt_initializationbPT_mmmmmEUlmE9_EvS5_mmT0_
; %bb.0:
	s_clause 0x1
	s_load_b32 s2, s[0:1], 0x2c
	s_load_b128 s[4:7], s[0:1], 0x0
	s_bfe_u32 s3, ttmp6, 0x4000c
	s_and_b32 s8, ttmp6, 15
	s_add_co_i32 s3, s3, 1
	s_getreg_b32 s9, hwreg(HW_REG_IB_STS2, 6, 4)
	s_mul_i32 s3, ttmp9, s3
	v_mov_b32_e32 v1, 0
	s_add_co_i32 s8, s8, s3
	s_wait_kmcnt 0x0
	s_and_b32 s2, s2, 0xffff
	s_cmp_eq_u32 s9, 0
	s_cselect_b32 s3, ttmp9, s8
	s_delay_alu instid0(SALU_CYCLE_1) | instskip(SKIP_1) | instid1(VALU_DEP_1)
	v_mad_u32 v0, s3, s2, v0
	s_mov_b32 s2, exec_lo
	v_cmpx_gt_u64_e64 s[6:7], v[0:1]
	s_cbranch_execz .LBB65_18
; %bb.1:
	s_load_b96 s[0:2], s[0:1], 0x10
	s_wait_kmcnt 0x0
	v_add_nc_u64_e32 v[0:1], s[0:1], v[0:1]
	s_mov_b32 s0, 0xb90ffb1d
	s_delay_alu instid0(VALU_DEP_1) | instskip(NEXT) | instid1(VALU_DEP_1)
	v_add_nc_u32_e32 v2, s2, v0
	v_mad_u32 v3, v2, s0, 0xdc6d3ef
	s_mov_b32 s0, 0x6ab9d291
	s_delay_alu instid0(VALU_DEP_1) | instskip(SKIP_3) | instid1(VALU_DEP_2)
	v_lshrrev_b32_e32 v5, 2, v3
	v_mad_u32 v4, 0x10dcd, v2, 1
	v_mad_u32 v6, v2, s0, 0xdfb3c992
	s_mov_b32 s0, exec_lo
	v_dual_lshlrev_b32 v7, 4, v4 :: v_dual_bitop2_b32 v3, v5, v3 bitop3:0x14
	s_delay_alu instid0(VALU_DEP_1) | instskip(NEXT) | instid1(VALU_DEP_1)
	v_dual_lshlrev_b32 v5, 1, v3 :: v_dual_lshrrev_b32 v8, 2, v6
	v_xor_b32_e32 v6, v8, v6
	s_delay_alu instid0(VALU_DEP_2) | instskip(NEXT) | instid1(VALU_DEP_1)
	v_xor_b32_e32 v5, v7, v5
	v_xor3_b32 v3, v5, v4, v3
	s_delay_alu instid0(VALU_DEP_1) | instskip(NEXT) | instid1(VALU_DEP_1)
	v_dual_lshlrev_b32 v5, 4, v3 :: v_dual_lshlrev_b32 v4, 1, v6
	v_xor_b32_e32 v5, v4, v5
	v_xor_b32_e32 v4, 0x587c5, v2
	s_delay_alu instid0(VALU_DEP_2) | instskip(NEXT) | instid1(VALU_DEP_1)
	v_xor3_b32 v2, v5, v6, v3
                                        ; implicit-def: $vgpr6
                                        ; implicit-def: $vgpr5
	v_add3_u32 v2, v4, v2, 0xb0f8a
	s_delay_alu instid0(VALU_DEP_1) | instskip(NEXT) | instid1(VALU_DEP_1)
	v_cvt_f32_u32_e32 v2, v2
	v_mul_f32_e32 v2, 0x2f800000, v2
	s_delay_alu instid0(VALU_DEP_1) | instskip(NEXT) | instid1(VALU_DEP_1)
	v_mul_f32_e32 v2, 0x40c90fdb, v2
	v_cmpx_ngt_f32_e32 0x48000000, v2
	s_xor_b32 s2, exec_lo, s0
	s_cbranch_execz .LBB65_3
; %bb.2:
	s_mov_b32 s0, 0x7fffff
	v_mov_b32_e32 v7, 0
	v_and_or_b32 v6, v2, s0, 0x800000
	s_mov_b64 s[0:1], 0xfe5163ab
	v_lshrrev_b32_e32 v5, 23, v2
	s_delay_alu instid0(VALU_DEP_2) | instskip(NEXT) | instid1(VALU_DEP_1)
	v_mul_u64_e32 v[8:9], s[0:1], v[6:7]
	v_dual_mov_b32 v10, v9 :: v_dual_mov_b32 v11, v7
	v_dual_mov_b32 v13, v7 :: v_dual_mov_b32 v15, v7
	;; [unrolled: 1-line block ×3, first 2 shown]
	s_delay_alu instid0(VALU_DEP_3) | instskip(NEXT) | instid1(VALU_DEP_1)
	v_mad_nc_u64_u32 v[10:11], 0x3c439041, v6, v[10:11]
	v_mov_b32_e32 v12, v11
	s_delay_alu instid0(VALU_DEP_1) | instskip(NEXT) | instid1(VALU_DEP_1)
	v_mad_nc_u64_u32 v[12:13], 0xdb629599, v6, v[12:13]
	v_mov_b32_e32 v14, v13
	s_delay_alu instid0(VALU_DEP_1) | instskip(NEXT) | instid1(VALU_DEP_1)
	;; [unrolled: 3-line block ×3, first 2 shown]
	v_mad_nc_u64_u32 v[16:17], 0xfc2757d1, v6, v[16:17]
	v_dual_mov_b32 v19, v7 :: v_dual_mov_b32 v18, v17
	s_delay_alu instid0(VALU_DEP_1) | instskip(NEXT) | instid1(VALU_DEP_1)
	v_mad_nc_u64_u32 v[18:19], 0x4e441529, v6, v[18:19]
	v_dual_mov_b32 v20, v19 :: v_dual_add_nc_u32 v5, 0xffffff88, v5
	s_delay_alu instid0(VALU_DEP_1) | instskip(NEXT) | instid1(VALU_DEP_2)
	v_cmp_lt_u32_e32 vcc_lo, 63, v5
	v_mad_nc_u64_u32 v[6:7], 0xa2f9836e, v6, v[20:21]
	v_cndmask_b32_e64 v9, 0, 0xffffffc0, vcc_lo
	v_dual_cndmask_b32 v11, v18, v14 :: v_dual_cndmask_b32 v8, v12, v8
	s_delay_alu instid0(VALU_DEP_2) | instskip(NEXT) | instid1(VALU_DEP_1)
	v_add_nc_u32_e32 v5, v9, v5
	v_cmp_lt_u32_e64 s0, 31, v5
	v_dual_cndmask_b32 v6, v6, v16 :: v_dual_cndmask_b32 v7, v7, v18
	s_delay_alu instid0(VALU_DEP_2) | instskip(NEXT) | instid1(VALU_DEP_1)
	v_cndmask_b32_e64 v9, 0, 0xffffffe0, s0
	v_add_nc_u32_e32 v5, v9, v5
	s_delay_alu instid0(VALU_DEP_1) | instskip(NEXT) | instid1(VALU_DEP_1)
	v_cmp_lt_u32_e64 s1, 31, v5
	v_cndmask_b32_e64 v9, 0, 0xffffffe0, s1
	s_delay_alu instid0(VALU_DEP_1) | instskip(SKIP_2) | instid1(VALU_DEP_3)
	v_dual_cndmask_b32 v13, v16, v12, vcc_lo :: v_dual_add_nc_u32 v5, v9, v5
	v_cndmask_b32_e32 v9, v14, v10, vcc_lo
	v_dual_cndmask_b32 v10, v6, v11, s0 :: v_dual_cndmask_b32 v6, v7, v6, s0
	v_cndmask_b32_e64 v7, v11, v13, s0
	s_delay_alu instid0(VALU_DEP_4) | instskip(NEXT) | instid1(VALU_DEP_4)
	v_sub_nc_u32_e32 v11, 32, v5
	v_cndmask_b32_e64 v13, v13, v9, s0
	v_cmp_eq_u32_e32 vcc_lo, 0, v5
	v_cndmask_b32_e64 v6, v6, v10, s1
	s_delay_alu instid0(VALU_DEP_3) | instskip(NEXT) | instid1(VALU_DEP_1)
	v_dual_cndmask_b32 v10, v10, v7, s1 :: v_dual_cndmask_b32 v7, v7, v13, s1
	v_alignbit_b32 v14, v6, v10, v11
	s_delay_alu instid0(VALU_DEP_2) | instskip(NEXT) | instid1(VALU_DEP_2)
	v_alignbit_b32 v12, v10, v7, v11
	v_dual_cndmask_b32 v5, v14, v6, vcc_lo :: v_dual_cndmask_b32 v6, v9, v8, s0
	s_delay_alu instid0(VALU_DEP_1) | instskip(NEXT) | instid1(VALU_DEP_1)
	v_bfe_u32 v9, v5, 29, 1
	v_dual_cndmask_b32 v8, v12, v10, vcc_lo :: v_dual_sub_nc_u32 v12, 0, v9
	s_delay_alu instid0(VALU_DEP_1) | instskip(NEXT) | instid1(VALU_DEP_1)
	v_alignbit_b32 v10, v5, v8, 30
	v_dual_cndmask_b32 v6, v13, v6, s1 :: v_dual_bitop2_b32 v10, v10, v12 bitop3:0x14
	s_delay_alu instid0(VALU_DEP_1) | instskip(NEXT) | instid1(VALU_DEP_1)
	v_alignbit_b32 v11, v7, v6, v11
	v_cndmask_b32_e32 v7, v11, v7, vcc_lo
	s_delay_alu instid0(VALU_DEP_3) | instskip(NEXT) | instid1(VALU_DEP_2)
	v_clz_i32_u32_e32 v11, v10
	v_alignbit_b32 v6, v7, v6, 30
	s_delay_alu instid0(VALU_DEP_2) | instskip(NEXT) | instid1(VALU_DEP_2)
	v_min_u32_e32 v11, 32, v11
	v_xor_b32_e32 v6, v6, v12
	v_alignbit_b32 v8, v8, v7, 30
	s_delay_alu instid0(VALU_DEP_1) | instskip(SKIP_1) | instid1(VALU_DEP_1)
	v_dual_lshlrev_b32 v13, 23, v11 :: v_dual_bitop2_b32 v7, v8, v12 bitop3:0x14
	v_dual_sub_nc_u32 v8, 31, v11 :: v_dual_lshrrev_b32 v12, 29, v5
	v_alignbit_b32 v10, v10, v7, v8
	v_alignbit_b32 v6, v7, v6, v8
	s_delay_alu instid0(VALU_DEP_3) | instskip(NEXT) | instid1(VALU_DEP_2)
	v_lshlrev_b32_e32 v7, 31, v12
	v_alignbit_b32 v8, v10, v6, 9
	s_delay_alu instid0(VALU_DEP_2) | instskip(NEXT) | instid1(VALU_DEP_2)
	v_dual_lshrrev_b32 v10, 9, v10 :: v_dual_bitop2_b32 v12, 0.5, v7 bitop3:0x54
	v_clz_i32_u32_e32 v14, v8
	s_delay_alu instid0(VALU_DEP_2) | instskip(SKIP_1) | instid1(VALU_DEP_3)
	v_sub_nc_u32_e32 v12, v12, v13
	v_or_b32_e32 v7, 0x33000000, v7
	v_min_u32_e32 v13, 32, v14
	s_delay_alu instid0(VALU_DEP_1) | instskip(NEXT) | instid1(VALU_DEP_4)
	v_add_lshl_u32 v11, v13, v11, 23
	v_or_b32_e32 v10, v10, v12
	v_not_b32_e32 v12, v13
	s_delay_alu instid0(VALU_DEP_2) | instskip(NEXT) | instid1(VALU_DEP_2)
	v_dual_mul_f32 v14, 0x3fc90fda, v10 :: v_dual_sub_nc_u32 v7, v7, v11
	v_alignbit_b32 v6, v8, v6, v12
	s_delay_alu instid0(VALU_DEP_2) | instskip(NEXT) | instid1(VALU_DEP_2)
	v_fma_f32 v8, 0x3fc90fda, v10, -v14
	v_lshrrev_b32_e32 v6, 9, v6
	s_delay_alu instid0(VALU_DEP_2) | instskip(NEXT) | instid1(VALU_DEP_2)
	v_fmamk_f32 v8, v10, 0x33a22168, v8
	v_or_b32_e32 v6, v7, v6
	s_delay_alu instid0(VALU_DEP_1) | instskip(NEXT) | instid1(VALU_DEP_1)
	v_fmac_f32_e32 v8, 0x3fc90fda, v6
	v_dual_add_f32 v5, v14, v8 :: v_dual_lshrrev_b32 v6, 30, v5
	s_delay_alu instid0(VALU_DEP_1)
	v_add_nc_u32_e32 v6, v9, v6
.LBB65_3:
	s_and_not1_saveexec_b32 s0, s2
; %bb.4:
	v_mul_f32_e32 v5, 0x3f22f983, v2
	s_delay_alu instid0(VALU_DEP_1) | instskip(NEXT) | instid1(VALU_DEP_1)
	v_rndne_f32_e32 v6, v5
	v_fmamk_f32 v5, v6, 0xbfc90fda, v2
	s_delay_alu instid0(VALU_DEP_1) | instskip(NEXT) | instid1(VALU_DEP_1)
	v_fmamk_f32 v5, v6, 0xb3a22168, v5
	v_fmamk_f32 v5, v6, 0xa7c234c4, v5
	v_cvt_i32_f32_e32 v6, v6
; %bb.5:
	s_or_b32 exec_lo, exec_lo, s0
	v_add3_u32 v3, v4, v3, 0x587c5
	s_mov_b32 s0, 0xb94c1982
	s_mov_b32 s1, 0x37d75334
	s_delay_alu instid0(VALU_DEP_1) | instskip(NEXT) | instid1(VALU_DEP_1)
	v_cvt_f32_u32_e32 v3, v3
	v_mul_f32_e32 v3, 0x2f800000, v3
	s_delay_alu instid0(VALU_DEP_1) | instskip(SKIP_1) | instid1(VALU_DEP_1)
	v_cmp_ngt_f32_e32 vcc_lo, 0x2edbe6ff, v3
	v_cndmask_b32_e32 v3, 0x2edbe6ff, v3, vcc_lo
	v_cmp_gt_f32_e32 vcc_lo, 0x800000, v3
	v_cndmask_b32_e64 v4, 0, 32, vcc_lo
	v_cndmask_b32_e64 v7, 0, 0x41b17218, vcc_lo
	s_delay_alu instid0(VALU_DEP_2) | instskip(NEXT) | instid1(VALU_DEP_1)
	v_ldexp_f32 v3, v3, v4
	v_log_f32_e32 v3, v3
	v_nop
	s_delay_alu instid0(TRANS32_DEP_1) | instskip(SKIP_1) | instid1(VALU_DEP_2)
	v_mul_f32_e32 v4, 0x3f317217, v3
	v_cmp_gt_f32_e64 vcc_lo, 0x7f800000, |v3|
	v_fma_f32 v4, 0x3f317217, v3, -v4
	s_delay_alu instid0(VALU_DEP_1) | instskip(NEXT) | instid1(VALU_DEP_1)
	v_fmamk_f32 v4, v3, 0x3377d1cf, v4
	v_fmac_f32_e32 v4, 0x3f317217, v3
	s_delay_alu instid0(VALU_DEP_1) | instskip(NEXT) | instid1(VALU_DEP_1)
	v_cndmask_b32_e32 v3, v3, v4, vcc_lo
	v_dual_sub_f32 v3, v3, v7 :: v_dual_mul_f32 v7, v5, v5
	s_delay_alu instid0(VALU_DEP_1) | instskip(NEXT) | instid1(VALU_DEP_2)
	v_mul_f32_e32 v3, -2.0, v3
	v_fmaak_f32 v9, s0, v7, 0x3c0881c4
	v_fmaak_f32 v10, s1, v7, 0xbab64f3b
	s_delay_alu instid0(VALU_DEP_3) | instskip(SKIP_1) | instid1(VALU_DEP_2)
	v_mul_f32_e32 v4, 0x4f800000, v3
	v_cmp_gt_f32_e32 vcc_lo, 0xf800000, v3
	v_cndmask_b32_e32 v3, v3, v4, vcc_lo
	s_delay_alu instid0(VALU_DEP_1) | instskip(SKIP_1) | instid1(TRANS32_DEP_1)
	v_sqrt_f32_e32 v4, v3
	v_nop
	v_dual_add_nc_u32 v8, -1, v4 :: v_dual_add_nc_u32 v11, 1, v4
	s_delay_alu instid0(VALU_DEP_1) | instskip(NEXT) | instid1(VALU_DEP_1)
	v_dual_fma_f32 v12, -v8, v4, v3 :: v_dual_fma_f32 v13, -v11, v4, v3
	v_cmp_ge_f32_e64 s0, 0, v12
	s_delay_alu instid0(VALU_DEP_1) | instskip(NEXT) | instid1(VALU_DEP_3)
	v_cndmask_b32_e64 v4, v4, v8, s0
	v_cmp_lt_f32_e64 s0, 0, v13
	s_delay_alu instid0(VALU_DEP_1) | instskip(SKIP_1) | instid1(VALU_DEP_1)
	v_cndmask_b32_e64 v4, v4, v11, s0
	v_fmaak_f32 v9, v7, v9, 0xbe2aaa9d
	v_mul_f32_e32 v8, v7, v9
	s_delay_alu instid0(VALU_DEP_1) | instskip(NEXT) | instid1(VALU_DEP_4)
	v_fmac_f32_e32 v5, v5, v8
	v_mul_f32_e32 v8, 0x37800000, v4
	s_delay_alu instid0(VALU_DEP_1) | instskip(SKIP_1) | instid1(VALU_DEP_1)
	v_cndmask_b32_e32 v4, v4, v8, vcc_lo
	v_fmaak_f32 v10, v7, v10, 0x3d2aabf7
	v_fmaak_f32 v9, v7, v10, 0xbf000004
	v_dual_lshlrev_b32 v6, 30, v6 :: v_dual_bitop2_b32 v10, 1, v6 bitop3:0x40
	v_cmp_class_f32_e64 vcc_lo, v3, 0x260
	s_delay_alu instid0(VALU_DEP_3) | instskip(NEXT) | instid1(VALU_DEP_3)
	v_fma_f32 v7, v7, v9, 1.0
	v_cmp_eq_u32_e64 s0, 0, v10
	v_cndmask_b32_e32 v3, v4, v3, vcc_lo
	v_cmp_lg_f32_e32 vcc_lo, 0x7f800000, v2
	s_delay_alu instid0(VALU_DEP_3) | instskip(NEXT) | instid1(VALU_DEP_1)
	v_cndmask_b32_e64 v5, -v5, v7, s0
	v_bitop3_b32 v5, v6, v5, 0x80000000 bitop3:0x6c
	s_delay_alu instid0(VALU_DEP_1) | instskip(NEXT) | instid1(VALU_DEP_1)
	v_cndmask_b32_e32 v2, 0x7fc00000, v5, vcc_lo
	v_dual_mul_f32 v4, v3, v2 :: v_dual_mov_b32 v3, 0
	s_delay_alu instid0(VALU_DEP_1) | instskip(NEXT) | instid1(VALU_DEP_1)
	v_and_b32_e32 v2, 0x7f800000, v4
	v_cmp_ne_u64_e32 vcc_lo, 0x7f800000, v[2:3]
	v_mov_b32_e32 v2, 0x80
	s_and_saveexec_b32 s2, vcc_lo
	s_cbranch_execz .LBB65_17
; %bb.6:
	v_and_b32_e32 v2, 0x7fffffff, v4
	s_delay_alu instid0(VALU_DEP_1) | instskip(SKIP_1) | instid1(SALU_CYCLE_1)
	v_cmp_gt_u64_e32 vcc_lo, 0x47600001, v[2:3]
                                        ; implicit-def: $vgpr2
	s_and_saveexec_b32 s0, vcc_lo
	s_xor_b32 s3, exec_lo, s0
	s_cbranch_execz .LBB65_14
; %bb.7:
	v_mov_b32_e32 v2, 0
	s_mov_b32 s6, exec_lo
	v_cmpx_ne_u32_e32 0, v4
	s_cbranch_execz .LBB65_13
; %bb.8:
	v_bfe_u32 v5, v4, 23, 8
	v_and_b32_e32 v6, 0x7fffff, v4
	v_mov_b32_e32 v3, 0
	s_delay_alu instid0(VALU_DEP_3) | instskip(SKIP_2) | instid1(VALU_DEP_3)
	v_sub_nc_u32_e64 v2, 0x70, v5 clamp
	v_cmp_eq_u32_e32 vcc_lo, 0, v5
	v_add_nc_u32_e32 v5, 0xffffff91, v5
	v_cndmask_b32_e64 v12, v2, 0x6f, vcc_lo
	v_or_b32_e32 v2, 0x800000, v6
	s_delay_alu instid0(VALU_DEP_1) | instskip(SKIP_1) | instid1(VALU_DEP_2)
	v_dual_cndmask_b32 v2, v2, v6 :: v_dual_add_nc_u32 v7, 21, v12
	v_add_nc_u32_e32 v10, 20, v12
	v_lshlrev_b64_e64 v[6:7], v7, -1
	s_delay_alu instid0(VALU_DEP_3) | instskip(NEXT) | instid1(VALU_DEP_3)
	v_lshrrev_b64 v[8:9], v12, v[2:3]
	v_lshlrev_b64_e64 v[10:11], v10, 1
	s_delay_alu instid0(VALU_DEP_3) | instskip(NEXT) | instid1(VALU_DEP_4)
	v_bfi_b32 v7, v7, 0, 0
	v_bfi_b32 v6, v6, 0, v2
	s_delay_alu instid0(VALU_DEP_4) | instskip(NEXT) | instid1(VALU_DEP_2)
	v_and_b32_e32 v2, 0x200000, v8
	v_cmp_eq_u64_e64 s0, v[6:7], v[10:11]
	s_delay_alu instid0(VALU_DEP_2) | instskip(SKIP_2) | instid1(VALU_DEP_1)
	v_cmp_eq_u64_e64 s1, 0, v[2:3]
	v_cndmask_b32_e64 v2, v5, 0xffffff92, vcc_lo
	v_lshrrev_b32_e32 v5, 23, v8
	v_add3_u32 v6, v2, v12, v5
	s_and_b32 vcc_lo, s1, s0
	s_mov_b32 s0, exec_lo
	v_subrev_co_ci_u32_e64 v7, null, 0, v8, vcc_lo
                                        ; implicit-def: $vgpr5
	s_delay_alu instid0(VALU_DEP_1) | instskip(NEXT) | instid1(VALU_DEP_1)
	v_and_b32_e32 v2, 0x1fffff, v7
	v_dual_add_nc_u32 v7, -1, v6 :: v_dual_add_nc_u32 v2, v2, v8
	s_delay_alu instid0(VALU_DEP_1)
	v_cmpx_ne_u32_e32 0, v7
	s_xor_b32 s0, exec_lo, s0
	s_cbranch_execz .LBB65_10
; %bb.9:
	s_delay_alu instid0(VALU_DEP_2) | instskip(SKIP_2) | instid1(VALU_DEP_2)
	v_and_b32_e32 v8, 0x1000000, v2
	v_mov_b32_e32 v9, v3
	v_bfe_u32 v5, v2, 24, 1
	v_cmp_eq_u64_e32 vcc_lo, 0, v[8:9]
	s_delay_alu instid0(VALU_DEP_2)
	v_lshrrev_b64 v[2:3], v5, v[2:3]
	v_cndmask_b32_e32 v5, v6, v7, vcc_lo
.LBB65_10:
	s_and_not1_saveexec_b32 s0, s0
; %bb.11:
	s_delay_alu instid0(VALU_DEP_2)
	v_bfe_u32 v5, v2, 23, 1
; %bb.12:
	s_or_b32 exec_lo, exec_lo, s0
	s_delay_alu instid0(VALU_DEP_3) | instskip(NEXT) | instid1(VALU_DEP_2)
	v_lshrrev_b64 v[2:3], 21, v[2:3]
	v_dual_lshrrev_b32 v4, 24, v4 :: v_dual_min_i32 v6, 31, v5
	v_cmp_gt_i32_e32 vcc_lo, 32, v5
	v_cmp_eq_u32_e64 s0, 0, v5
	s_delay_alu instid0(VALU_DEP_3) | instskip(SKIP_1) | instid1(VALU_DEP_2)
	v_and_b32_e32 v4, 0x80, v4
	v_dual_cndmask_b32 v3, 0, v3 :: v_dual_cndmask_b32 v2, 3, v2
	v_lshl_or_b32 v4, v6, 2, v4
	s_delay_alu instid0(VALU_DEP_2) | instskip(NEXT) | instid1(VALU_DEP_2)
	v_cmp_eq_u64_e32 vcc_lo, 0, v[2:3]
	v_and_or_b32 v2, v2, 3, v4
	s_and_b32 s0, s0, vcc_lo
	s_delay_alu instid0(VALU_DEP_1) | instid1(SALU_CYCLE_1)
	v_cndmask_b32_e64 v2, v2, 0, s0
.LBB65_13:
	s_or_b32 exec_lo, exec_lo, s6
                                        ; implicit-def: $vgpr4
.LBB65_14:
	s_and_not1_saveexec_b32 s0, s3
; %bb.15:
	v_lshrrev_b32_e32 v2, 24, v4
	s_delay_alu instid0(VALU_DEP_1)
	v_or_b32_e32 v2, 0x7f, v2
; %bb.16:
	s_or_b32 exec_lo, exec_lo, s0
.LBB65_17:
	s_delay_alu instid0(SALU_CYCLE_1)
	s_or_b32 exec_lo, exec_lo, s2
	v_add_nc_u64_e32 v[0:1], s[4:5], v[0:1]
	global_store_b8 v[0:1], v2, off
.LBB65_18:
	s_endpgm
	.section	.rodata,"a",@progbits
	.p2align	6, 0x0
	.amdhsa_kernel _Z11fill_kernelI18hipblaslt_bf8_fnuzZ21hipblaslt_init_deviceIS0_Ev8ABC_dims24hipblaslt_initializationbPT_mmmmmEUlmE9_EvS5_mmT0_
		.amdhsa_group_segment_fixed_size 0
		.amdhsa_private_segment_fixed_size 0
		.amdhsa_kernarg_size 288
		.amdhsa_user_sgpr_count 2
		.amdhsa_user_sgpr_dispatch_ptr 0
		.amdhsa_user_sgpr_queue_ptr 0
		.amdhsa_user_sgpr_kernarg_segment_ptr 1
		.amdhsa_user_sgpr_dispatch_id 0
		.amdhsa_user_sgpr_kernarg_preload_length 0
		.amdhsa_user_sgpr_kernarg_preload_offset 0
		.amdhsa_user_sgpr_private_segment_size 0
		.amdhsa_wavefront_size32 1
		.amdhsa_uses_dynamic_stack 0
		.amdhsa_enable_private_segment 0
		.amdhsa_system_sgpr_workgroup_id_x 1
		.amdhsa_system_sgpr_workgroup_id_y 0
		.amdhsa_system_sgpr_workgroup_id_z 0
		.amdhsa_system_sgpr_workgroup_info 0
		.amdhsa_system_vgpr_workitem_id 0
		.amdhsa_next_free_vgpr 22
		.amdhsa_next_free_sgpr 10
		.amdhsa_named_barrier_count 0
		.amdhsa_reserve_vcc 1
		.amdhsa_float_round_mode_32 0
		.amdhsa_float_round_mode_16_64 0
		.amdhsa_float_denorm_mode_32 3
		.amdhsa_float_denorm_mode_16_64 3
		.amdhsa_fp16_overflow 0
		.amdhsa_memory_ordered 1
		.amdhsa_forward_progress 1
		.amdhsa_inst_pref_size 17
		.amdhsa_round_robin_scheduling 0
		.amdhsa_exception_fp_ieee_invalid_op 0
		.amdhsa_exception_fp_denorm_src 0
		.amdhsa_exception_fp_ieee_div_zero 0
		.amdhsa_exception_fp_ieee_overflow 0
		.amdhsa_exception_fp_ieee_underflow 0
		.amdhsa_exception_fp_ieee_inexact 0
		.amdhsa_exception_int_div_zero 0
	.end_amdhsa_kernel
	.section	.text._Z11fill_kernelI18hipblaslt_bf8_fnuzZ21hipblaslt_init_deviceIS0_Ev8ABC_dims24hipblaslt_initializationbPT_mmmmmEUlmE9_EvS5_mmT0_,"axG",@progbits,_Z11fill_kernelI18hipblaslt_bf8_fnuzZ21hipblaslt_init_deviceIS0_Ev8ABC_dims24hipblaslt_initializationbPT_mmmmmEUlmE9_EvS5_mmT0_,comdat
.Lfunc_end65:
	.size	_Z11fill_kernelI18hipblaslt_bf8_fnuzZ21hipblaslt_init_deviceIS0_Ev8ABC_dims24hipblaslt_initializationbPT_mmmmmEUlmE9_EvS5_mmT0_, .Lfunc_end65-_Z11fill_kernelI18hipblaslt_bf8_fnuzZ21hipblaslt_init_deviceIS0_Ev8ABC_dims24hipblaslt_initializationbPT_mmmmmEUlmE9_EvS5_mmT0_
                                        ; -- End function
	.set _Z11fill_kernelI18hipblaslt_bf8_fnuzZ21hipblaslt_init_deviceIS0_Ev8ABC_dims24hipblaslt_initializationbPT_mmmmmEUlmE9_EvS5_mmT0_.num_vgpr, 22
	.set _Z11fill_kernelI18hipblaslt_bf8_fnuzZ21hipblaslt_init_deviceIS0_Ev8ABC_dims24hipblaslt_initializationbPT_mmmmmEUlmE9_EvS5_mmT0_.num_agpr, 0
	.set _Z11fill_kernelI18hipblaslt_bf8_fnuzZ21hipblaslt_init_deviceIS0_Ev8ABC_dims24hipblaslt_initializationbPT_mmmmmEUlmE9_EvS5_mmT0_.numbered_sgpr, 10
	.set _Z11fill_kernelI18hipblaslt_bf8_fnuzZ21hipblaslt_init_deviceIS0_Ev8ABC_dims24hipblaslt_initializationbPT_mmmmmEUlmE9_EvS5_mmT0_.num_named_barrier, 0
	.set _Z11fill_kernelI18hipblaslt_bf8_fnuzZ21hipblaslt_init_deviceIS0_Ev8ABC_dims24hipblaslt_initializationbPT_mmmmmEUlmE9_EvS5_mmT0_.private_seg_size, 0
	.set _Z11fill_kernelI18hipblaslt_bf8_fnuzZ21hipblaslt_init_deviceIS0_Ev8ABC_dims24hipblaslt_initializationbPT_mmmmmEUlmE9_EvS5_mmT0_.uses_vcc, 1
	.set _Z11fill_kernelI18hipblaslt_bf8_fnuzZ21hipblaslt_init_deviceIS0_Ev8ABC_dims24hipblaslt_initializationbPT_mmmmmEUlmE9_EvS5_mmT0_.uses_flat_scratch, 0
	.set _Z11fill_kernelI18hipblaslt_bf8_fnuzZ21hipblaslt_init_deviceIS0_Ev8ABC_dims24hipblaslt_initializationbPT_mmmmmEUlmE9_EvS5_mmT0_.has_dyn_sized_stack, 0
	.set _Z11fill_kernelI18hipblaslt_bf8_fnuzZ21hipblaslt_init_deviceIS0_Ev8ABC_dims24hipblaslt_initializationbPT_mmmmmEUlmE9_EvS5_mmT0_.has_recursion, 0
	.set _Z11fill_kernelI18hipblaslt_bf8_fnuzZ21hipblaslt_init_deviceIS0_Ev8ABC_dims24hipblaslt_initializationbPT_mmmmmEUlmE9_EvS5_mmT0_.has_indirect_call, 0
	.section	.AMDGPU.csdata,"",@progbits
; Kernel info:
; codeLenInByte = 2120
; TotalNumSgprs: 12
; NumVgprs: 22
; ScratchSize: 0
; MemoryBound: 0
; FloatMode: 240
; IeeeMode: 1
; LDSByteSize: 0 bytes/workgroup (compile time only)
; SGPRBlocks: 0
; VGPRBlocks: 1
; NumSGPRsForWavesPerEU: 12
; NumVGPRsForWavesPerEU: 22
; NamedBarCnt: 0
; Occupancy: 16
; WaveLimiterHint : 0
; COMPUTE_PGM_RSRC2:SCRATCH_EN: 0
; COMPUTE_PGM_RSRC2:USER_SGPR: 2
; COMPUTE_PGM_RSRC2:TRAP_HANDLER: 0
; COMPUTE_PGM_RSRC2:TGID_X_EN: 1
; COMPUTE_PGM_RSRC2:TGID_Y_EN: 0
; COMPUTE_PGM_RSRC2:TGID_Z_EN: 0
; COMPUTE_PGM_RSRC2:TIDIG_COMP_CNT: 0
	.section	.text._Z11fill_kernelI12hipblaslt_f8Z21hipblaslt_init_deviceIS0_Ev8ABC_dims24hipblaslt_initializationbPT_mmmmmEUlmE_EvS5_mmT0_,"axG",@progbits,_Z11fill_kernelI12hipblaslt_f8Z21hipblaslt_init_deviceIS0_Ev8ABC_dims24hipblaslt_initializationbPT_mmmmmEUlmE_EvS5_mmT0_,comdat
	.protected	_Z11fill_kernelI12hipblaslt_f8Z21hipblaslt_init_deviceIS0_Ev8ABC_dims24hipblaslt_initializationbPT_mmmmmEUlmE_EvS5_mmT0_ ; -- Begin function _Z11fill_kernelI12hipblaslt_f8Z21hipblaslt_init_deviceIS0_Ev8ABC_dims24hipblaslt_initializationbPT_mmmmmEUlmE_EvS5_mmT0_
	.globl	_Z11fill_kernelI12hipblaslt_f8Z21hipblaslt_init_deviceIS0_Ev8ABC_dims24hipblaslt_initializationbPT_mmmmmEUlmE_EvS5_mmT0_
	.p2align	8
	.type	_Z11fill_kernelI12hipblaslt_f8Z21hipblaslt_init_deviceIS0_Ev8ABC_dims24hipblaslt_initializationbPT_mmmmmEUlmE_EvS5_mmT0_,@function
_Z11fill_kernelI12hipblaslt_f8Z21hipblaslt_init_deviceIS0_Ev8ABC_dims24hipblaslt_initializationbPT_mmmmmEUlmE_EvS5_mmT0_: ; @_Z11fill_kernelI12hipblaslt_f8Z21hipblaslt_init_deviceIS0_Ev8ABC_dims24hipblaslt_initializationbPT_mmmmmEUlmE_EvS5_mmT0_
; %bb.0:
	s_clause 0x1
	s_load_b32 s2, s[0:1], 0x8c
	s_load_b128 s[4:7], s[0:1], 0x0
	s_bfe_u32 s3, ttmp6, 0x4000c
	s_and_b32 s8, ttmp6, 15
	s_add_co_i32 s3, s3, 1
	s_getreg_b32 s9, hwreg(HW_REG_IB_STS2, 6, 4)
	s_mul_i32 s3, ttmp9, s3
	v_mov_b32_e32 v1, 0
	s_add_co_i32 s8, s8, s3
	s_wait_kmcnt 0x0
	s_and_b32 s2, s2, 0xffff
	s_cmp_eq_u32 s9, 0
	s_cselect_b32 s3, ttmp9, s8
	s_delay_alu instid0(SALU_CYCLE_1) | instskip(SKIP_1) | instid1(VALU_DEP_1)
	v_mad_u32 v0, s3, s2, v0
	s_mov_b32 s2, exec_lo
	v_cmpx_gt_u64_e64 s[6:7], v[0:1]
	s_cbranch_execz .LBB66_2
; %bb.1:
	s_load_b64 s[2:3], s[0:1], 0x10
	s_wait_kmcnt 0x0
	v_add_nc_u64_e32 v[0:1], s[2:3], v[0:1]
	s_mov_b32 s2, 0x19660d
	s_delay_alu instid0(VALU_DEP_1) | instid1(SALU_CYCLE_1)
	v_mad_nc_u64_u32 v[2:3], v0, s2, 0x3c6ef35f
	s_delay_alu instid0(VALU_DEP_1) | instskip(SKIP_1) | instid1(VALU_DEP_2)
	v_mad_u32 v3, 0x19660d, v1, v3
	v_add_nc_u64_e32 v[0:1], s[4:5], v[0:1]
	v_lshlrev_b64_e32 v[4:5], 13, v[2:3]
	s_delay_alu instid0(VALU_DEP_1) | instskip(NEXT) | instid1(VALU_DEP_2)
	v_xor_b32_e32 v3, v5, v3
	v_xor_b32_e32 v2, v4, v2
	s_delay_alu instid0(VALU_DEP_1) | instskip(NEXT) | instid1(VALU_DEP_1)
	v_lshrrev_b64 v[4:5], 17, v[2:3]
	v_xor_b32_e32 v3, v5, v3
	s_delay_alu instid0(VALU_DEP_2) | instskip(NEXT) | instid1(VALU_DEP_1)
	v_xor_b32_e32 v2, v4, v2
	v_lshlrev_b64_e32 v[4:5], 5, v[2:3]
	s_delay_alu instid0(VALU_DEP_1) | instskip(NEXT) | instid1(VALU_DEP_2)
	v_xor_b32_e32 v3, v5, v3
	v_xor_b32_e32 v2, v4, v2
	s_delay_alu instid0(VALU_DEP_1) | instskip(NEXT) | instid1(VALU_DEP_1)
	v_lshlrev_b64_e32 v[4:5], 13, v[2:3]
	v_xor_b32_e32 v3, v5, v3
	s_delay_alu instid0(VALU_DEP_2) | instskip(NEXT) | instid1(VALU_DEP_1)
	v_xor_b32_e32 v2, v4, v2
	v_lshrrev_b64 v[4:5], 17, v[2:3]
	s_delay_alu instid0(VALU_DEP_1) | instskip(NEXT) | instid1(VALU_DEP_2)
	v_xor_b32_e32 v3, v5, v3
	v_xor_b32_e32 v2, v4, v2
	s_delay_alu instid0(VALU_DEP_1) | instskip(NEXT) | instid1(VALU_DEP_1)
	v_lshlrev_b64_e32 v[4:5], 5, v[2:3]
	v_xor_b32_e32 v3, v5, v3
	s_delay_alu instid0(VALU_DEP_2) | instskip(NEXT) | instid1(VALU_DEP_1)
	v_xor_b32_e32 v2, v4, v2
	v_lshlrev_b64_e32 v[4:5], 13, v[2:3]
	s_delay_alu instid0(VALU_DEP_1) | instskip(NEXT) | instid1(VALU_DEP_2)
	v_xor_b32_e32 v3, v5, v3
	v_xor_b32_e32 v2, v4, v2
	s_delay_alu instid0(VALU_DEP_1) | instskip(NEXT) | instid1(VALU_DEP_1)
	v_alignbit_b32 v3, v3, v2, 17
	v_xor_b32_e32 v2, v3, v2
	s_delay_alu instid0(VALU_DEP_1) | instskip(NEXT) | instid1(VALU_DEP_1)
	v_lshlrev_b32_e32 v3, 5, v2
	v_xor_b32_e32 v2, v3, v2
	s_delay_alu instid0(VALU_DEP_1) | instskip(NEXT) | instid1(VALU_DEP_1)
	v_mul_hi_u32 v3, 0x51eb851f, v2
	v_lshrrev_b32_e32 v3, 5, v3
	s_delay_alu instid0(VALU_DEP_1) | instskip(NEXT) | instid1(VALU_DEP_1)
	v_mul_lo_u32 v3, 0x64, v3
	v_sub_nc_u32_e32 v2, v2, v3
	global_load_u8 v2, v2, s[0:1] offset:24
	s_wait_loadcnt 0x0
	global_store_b8 v[0:1], v2, off
.LBB66_2:
	s_endpgm
	.section	.rodata,"a",@progbits
	.p2align	6, 0x0
	.amdhsa_kernel _Z11fill_kernelI12hipblaslt_f8Z21hipblaslt_init_deviceIS0_Ev8ABC_dims24hipblaslt_initializationbPT_mmmmmEUlmE_EvS5_mmT0_
		.amdhsa_group_segment_fixed_size 0
		.amdhsa_private_segment_fixed_size 0
		.amdhsa_kernarg_size 384
		.amdhsa_user_sgpr_count 2
		.amdhsa_user_sgpr_dispatch_ptr 0
		.amdhsa_user_sgpr_queue_ptr 0
		.amdhsa_user_sgpr_kernarg_segment_ptr 1
		.amdhsa_user_sgpr_dispatch_id 0
		.amdhsa_user_sgpr_kernarg_preload_length 0
		.amdhsa_user_sgpr_kernarg_preload_offset 0
		.amdhsa_user_sgpr_private_segment_size 0
		.amdhsa_wavefront_size32 1
		.amdhsa_uses_dynamic_stack 0
		.amdhsa_enable_private_segment 0
		.amdhsa_system_sgpr_workgroup_id_x 1
		.amdhsa_system_sgpr_workgroup_id_y 0
		.amdhsa_system_sgpr_workgroup_id_z 0
		.amdhsa_system_sgpr_workgroup_info 0
		.amdhsa_system_vgpr_workitem_id 0
		.amdhsa_next_free_vgpr 6
		.amdhsa_next_free_sgpr 10
		.amdhsa_named_barrier_count 0
		.amdhsa_reserve_vcc 0
		.amdhsa_float_round_mode_32 0
		.amdhsa_float_round_mode_16_64 0
		.amdhsa_float_denorm_mode_32 3
		.amdhsa_float_denorm_mode_16_64 3
		.amdhsa_fp16_overflow 0
		.amdhsa_memory_ordered 1
		.amdhsa_forward_progress 1
		.amdhsa_inst_pref_size 4
		.amdhsa_round_robin_scheduling 0
		.amdhsa_exception_fp_ieee_invalid_op 0
		.amdhsa_exception_fp_denorm_src 0
		.amdhsa_exception_fp_ieee_div_zero 0
		.amdhsa_exception_fp_ieee_overflow 0
		.amdhsa_exception_fp_ieee_underflow 0
		.amdhsa_exception_fp_ieee_inexact 0
		.amdhsa_exception_int_div_zero 0
	.end_amdhsa_kernel
	.section	.text._Z11fill_kernelI12hipblaslt_f8Z21hipblaslt_init_deviceIS0_Ev8ABC_dims24hipblaslt_initializationbPT_mmmmmEUlmE_EvS5_mmT0_,"axG",@progbits,_Z11fill_kernelI12hipblaslt_f8Z21hipblaslt_init_deviceIS0_Ev8ABC_dims24hipblaslt_initializationbPT_mmmmmEUlmE_EvS5_mmT0_,comdat
.Lfunc_end66:
	.size	_Z11fill_kernelI12hipblaslt_f8Z21hipblaslt_init_deviceIS0_Ev8ABC_dims24hipblaslt_initializationbPT_mmmmmEUlmE_EvS5_mmT0_, .Lfunc_end66-_Z11fill_kernelI12hipblaslt_f8Z21hipblaslt_init_deviceIS0_Ev8ABC_dims24hipblaslt_initializationbPT_mmmmmEUlmE_EvS5_mmT0_
                                        ; -- End function
	.set _Z11fill_kernelI12hipblaslt_f8Z21hipblaslt_init_deviceIS0_Ev8ABC_dims24hipblaslt_initializationbPT_mmmmmEUlmE_EvS5_mmT0_.num_vgpr, 6
	.set _Z11fill_kernelI12hipblaslt_f8Z21hipblaslt_init_deviceIS0_Ev8ABC_dims24hipblaslt_initializationbPT_mmmmmEUlmE_EvS5_mmT0_.num_agpr, 0
	.set _Z11fill_kernelI12hipblaslt_f8Z21hipblaslt_init_deviceIS0_Ev8ABC_dims24hipblaslt_initializationbPT_mmmmmEUlmE_EvS5_mmT0_.numbered_sgpr, 10
	.set _Z11fill_kernelI12hipblaslt_f8Z21hipblaslt_init_deviceIS0_Ev8ABC_dims24hipblaslt_initializationbPT_mmmmmEUlmE_EvS5_mmT0_.num_named_barrier, 0
	.set _Z11fill_kernelI12hipblaslt_f8Z21hipblaslt_init_deviceIS0_Ev8ABC_dims24hipblaslt_initializationbPT_mmmmmEUlmE_EvS5_mmT0_.private_seg_size, 0
	.set _Z11fill_kernelI12hipblaslt_f8Z21hipblaslt_init_deviceIS0_Ev8ABC_dims24hipblaslt_initializationbPT_mmmmmEUlmE_EvS5_mmT0_.uses_vcc, 0
	.set _Z11fill_kernelI12hipblaslt_f8Z21hipblaslt_init_deviceIS0_Ev8ABC_dims24hipblaslt_initializationbPT_mmmmmEUlmE_EvS5_mmT0_.uses_flat_scratch, 0
	.set _Z11fill_kernelI12hipblaslt_f8Z21hipblaslt_init_deviceIS0_Ev8ABC_dims24hipblaslt_initializationbPT_mmmmmEUlmE_EvS5_mmT0_.has_dyn_sized_stack, 0
	.set _Z11fill_kernelI12hipblaslt_f8Z21hipblaslt_init_deviceIS0_Ev8ABC_dims24hipblaslt_initializationbPT_mmmmmEUlmE_EvS5_mmT0_.has_recursion, 0
	.set _Z11fill_kernelI12hipblaslt_f8Z21hipblaslt_init_deviceIS0_Ev8ABC_dims24hipblaslt_initializationbPT_mmmmmEUlmE_EvS5_mmT0_.has_indirect_call, 0
	.section	.AMDGPU.csdata,"",@progbits
; Kernel info:
; codeLenInByte = 392
; TotalNumSgprs: 10
; NumVgprs: 6
; ScratchSize: 0
; MemoryBound: 0
; FloatMode: 240
; IeeeMode: 1
; LDSByteSize: 0 bytes/workgroup (compile time only)
; SGPRBlocks: 0
; VGPRBlocks: 0
; NumSGPRsForWavesPerEU: 10
; NumVGPRsForWavesPerEU: 6
; NamedBarCnt: 0
; Occupancy: 16
; WaveLimiterHint : 0
; COMPUTE_PGM_RSRC2:SCRATCH_EN: 0
; COMPUTE_PGM_RSRC2:USER_SGPR: 2
; COMPUTE_PGM_RSRC2:TRAP_HANDLER: 0
; COMPUTE_PGM_RSRC2:TGID_X_EN: 1
; COMPUTE_PGM_RSRC2:TGID_Y_EN: 0
; COMPUTE_PGM_RSRC2:TGID_Z_EN: 0
; COMPUTE_PGM_RSRC2:TIDIG_COMP_CNT: 0
	.section	.text._Z11fill_kernelI12hipblaslt_f8Z21hipblaslt_init_deviceIS0_Ev8ABC_dims24hipblaslt_initializationbPT_mmmmmEUlmE0_EvS5_mmT0_,"axG",@progbits,_Z11fill_kernelI12hipblaslt_f8Z21hipblaslt_init_deviceIS0_Ev8ABC_dims24hipblaslt_initializationbPT_mmmmmEUlmE0_EvS5_mmT0_,comdat
	.protected	_Z11fill_kernelI12hipblaslt_f8Z21hipblaslt_init_deviceIS0_Ev8ABC_dims24hipblaslt_initializationbPT_mmmmmEUlmE0_EvS5_mmT0_ ; -- Begin function _Z11fill_kernelI12hipblaslt_f8Z21hipblaslt_init_deviceIS0_Ev8ABC_dims24hipblaslt_initializationbPT_mmmmmEUlmE0_EvS5_mmT0_
	.globl	_Z11fill_kernelI12hipblaslt_f8Z21hipblaslt_init_deviceIS0_Ev8ABC_dims24hipblaslt_initializationbPT_mmmmmEUlmE0_EvS5_mmT0_
	.p2align	8
	.type	_Z11fill_kernelI12hipblaslt_f8Z21hipblaslt_init_deviceIS0_Ev8ABC_dims24hipblaslt_initializationbPT_mmmmmEUlmE0_EvS5_mmT0_,@function
_Z11fill_kernelI12hipblaslt_f8Z21hipblaslt_init_deviceIS0_Ev8ABC_dims24hipblaslt_initializationbPT_mmmmmEUlmE0_EvS5_mmT0_: ; @_Z11fill_kernelI12hipblaslt_f8Z21hipblaslt_init_deviceIS0_Ev8ABC_dims24hipblaslt_initializationbPT_mmmmmEUlmE0_EvS5_mmT0_
; %bb.0:
	s_clause 0x1
	s_load_b32 s2, s[0:1], 0x2c
	s_load_b128 s[4:7], s[0:1], 0x0
	s_bfe_u32 s3, ttmp6, 0x4000c
	s_and_b32 s8, ttmp6, 15
	s_add_co_i32 s3, s3, 1
	s_getreg_b32 s9, hwreg(HW_REG_IB_STS2, 6, 4)
	s_mul_i32 s3, ttmp9, s3
	v_mov_b32_e32 v3, 0
	s_add_co_i32 s8, s8, s3
	s_wait_kmcnt 0x0
	s_and_b32 s2, s2, 0xffff
	s_cmp_eq_u32 s9, 0
	s_cselect_b32 s3, ttmp9, s8
	s_delay_alu instid0(SALU_CYCLE_1) | instskip(SKIP_1) | instid1(VALU_DEP_1)
	v_mad_u32 v2, s3, s2, v0
	s_mov_b32 s2, exec_lo
	v_cmpx_gt_u64_e64 s[6:7], v[2:3]
	s_cbranch_execz .LBB67_10
; %bb.1:
	s_load_b64 s[0:1], s[0:1], 0x10
	s_wait_kmcnt 0x0
	v_add_nc_u64_e32 v[0:1], s[0:1], v[2:3]
	s_mov_b32 s0, 0x19660d
	s_delay_alu instid0(VALU_DEP_1) | instid1(SALU_CYCLE_1)
	v_mad_nc_u64_u32 v[4:5], v0, s0, 0x3c6ef35f
	s_delay_alu instid0(VALU_DEP_1) | instskip(NEXT) | instid1(VALU_DEP_1)
	v_mad_u32 v5, 0x19660d, v1, v5
	v_lshlrev_b64_e32 v[6:7], 13, v[4:5]
	s_delay_alu instid0(VALU_DEP_1) | instskip(NEXT) | instid1(VALU_DEP_2)
	v_xor_b32_e32 v5, v7, v5
	v_xor_b32_e32 v4, v6, v4
	s_delay_alu instid0(VALU_DEP_1) | instskip(NEXT) | instid1(VALU_DEP_1)
	v_lshrrev_b64 v[6:7], 17, v[4:5]
	v_xor_b32_e32 v5, v7, v5
	s_delay_alu instid0(VALU_DEP_2) | instskip(NEXT) | instid1(VALU_DEP_1)
	v_xor_b32_e32 v4, v6, v4
	v_lshlrev_b64_e32 v[6:7], 5, v[4:5]
	s_delay_alu instid0(VALU_DEP_1) | instskip(NEXT) | instid1(VALU_DEP_2)
	v_xor_b32_e32 v5, v7, v5
	v_xor_b32_e32 v4, v6, v4
	s_delay_alu instid0(VALU_DEP_1) | instskip(NEXT) | instid1(VALU_DEP_1)
	v_lshlrev_b64_e32 v[6:7], 13, v[4:5]
	v_xor_b32_e32 v5, v7, v5
	s_delay_alu instid0(VALU_DEP_2) | instskip(NEXT) | instid1(VALU_DEP_1)
	v_xor_b32_e32 v4, v6, v4
	v_lshrrev_b64 v[6:7], 17, v[4:5]
	s_delay_alu instid0(VALU_DEP_1) | instskip(NEXT) | instid1(VALU_DEP_2)
	v_xor_b32_e32 v5, v7, v5
	v_xor_b32_e32 v4, v6, v4
	s_delay_alu instid0(VALU_DEP_1) | instskip(NEXT) | instid1(VALU_DEP_1)
	v_lshlrev_b64_e32 v[6:7], 5, v[4:5]
	v_xor_b32_e32 v5, v7, v5
	s_delay_alu instid0(VALU_DEP_2) | instskip(NEXT) | instid1(VALU_DEP_1)
	v_xor_b32_e32 v4, v6, v4
	v_lshlrev_b64_e32 v[6:7], 13, v[4:5]
	s_delay_alu instid0(VALU_DEP_1) | instskip(NEXT) | instid1(VALU_DEP_2)
	v_xor_b32_e32 v2, v7, v5
	v_xor_b32_e32 v4, v6, v4
	s_delay_alu instid0(VALU_DEP_1) | instskip(NEXT) | instid1(VALU_DEP_1)
	v_alignbit_b32 v2, v2, v4, 17
	v_xor_b32_e32 v2, v2, v4
	s_delay_alu instid0(VALU_DEP_1) | instskip(NEXT) | instid1(VALU_DEP_1)
	v_lshlrev_b32_e32 v4, 5, v2
	v_xor_b32_e32 v2, v4, v2
	s_delay_alu instid0(VALU_DEP_1) | instskip(NEXT) | instid1(VALU_DEP_1)
	v_mul_hi_u32 v4, 0xcccccccd, v2
	v_lshrrev_b32_e32 v4, 3, v4
	s_delay_alu instid0(VALU_DEP_1) | instskip(NEXT) | instid1(VALU_DEP_1)
	v_mul_lo_u32 v4, v4, 10
	v_sub_nc_u32_e32 v2, v2, v4
	s_delay_alu instid0(VALU_DEP_1) | instskip(NEXT) | instid1(VALU_DEP_1)
	v_add_nc_u32_e32 v2, 1, v2
	v_cvt_f32_u32_e32 v4, v2
	s_delay_alu instid0(VALU_DEP_1) | instskip(NEXT) | instid1(VALU_DEP_1)
	v_and_b32_e32 v2, 0x7f800000, v4
	v_cmp_ne_u64_e32 vcc_lo, 0x7f800000, v[2:3]
	v_mov_b32_e32 v2, 0x7f
	s_and_saveexec_b32 s2, vcc_lo
	s_cbranch_execz .LBB67_9
; %bb.2:
	v_mov_b32_e32 v2, 0x7e
	s_mov_b32 s3, exec_lo
	v_cmpx_gt_u32_e32 0x43e00001, v4
	s_cbranch_execz .LBB67_8
; %bb.3:
	v_lshrrev_b32_e32 v10, 23, v4
	v_and_b32_e32 v5, 0x7fffff, v4
	v_cmp_gt_u32_e32 vcc_lo, 0x800000, v4
	s_delay_alu instid0(VALU_DEP_3) | instskip(NEXT) | instid1(VALU_DEP_1)
	v_sub_nc_u32_e64 v2, 0x79, v10 clamp
	v_cndmask_b32_e64 v11, v2, 0x78, vcc_lo
	s_delay_alu instid0(VALU_DEP_4) | instskip(NEXT) | instid1(VALU_DEP_2)
	v_or_b32_e32 v2, 0x800000, v5
	v_dual_mov_b32 v3, 0 :: v_dual_add_nc_u32 v4, 20, v11
	s_delay_alu instid0(VALU_DEP_2) | instskip(NEXT) | instid1(VALU_DEP_2)
	v_cndmask_b32_e32 v2, v2, v5, vcc_lo
	v_lshlrev_b64_e64 v[4:5], v4, -1
	s_delay_alu instid0(VALU_DEP_2) | instskip(SKIP_2) | instid1(VALU_DEP_2)
	v_lshrrev_b64 v[8:9], v11, v[2:3]
	v_add_nc_u32_e32 v6, 19, v11
	v_add_nc_u32_e32 v9, 0xffffff88, v10
	v_lshlrev_b64_e64 v[6:7], v6, 1
	v_bfi_b32 v5, v5, 0, 0
	v_bfi_b32 v4, v4, 0, v2
	v_and_b32_e32 v2, 0x100000, v8
	s_delay_alu instid0(VALU_DEP_2) | instskip(NEXT) | instid1(VALU_DEP_2)
	v_cmp_eq_u64_e64 s0, v[4:5], v[6:7]
	v_cmp_eq_u64_e64 s1, 0, v[2:3]
	v_cndmask_b32_e64 v2, v9, 0xffffff89, vcc_lo
	v_lshrrev_b32_e32 v4, 23, v8
	s_delay_alu instid0(VALU_DEP_1) | instskip(SKIP_3) | instid1(VALU_DEP_1)
	v_add3_u32 v5, v2, v11, v4
	s_and_b32 vcc_lo, s1, s0
	s_mov_b32 s0, exec_lo
	v_subrev_co_ci_u32_e64 v6, null, 0, v8, vcc_lo
                                        ; implicit-def: $vgpr4
	v_and_b32_e32 v2, 0xfffff, v6
	s_delay_alu instid0(VALU_DEP_1) | instskip(NEXT) | instid1(VALU_DEP_1)
	v_dual_add_nc_u32 v6, -1, v5 :: v_dual_add_nc_u32 v2, v2, v8
	v_cmpx_ne_u32_e32 0, v6
	s_xor_b32 s0, exec_lo, s0
	s_cbranch_execz .LBB67_5
; %bb.4:
	s_delay_alu instid0(VALU_DEP_2) | instskip(SKIP_2) | instid1(VALU_DEP_2)
	v_and_b32_e32 v8, 0x1000000, v2
	v_mov_b32_e32 v9, v3
	v_bfe_u32 v4, v2, 24, 1
	v_cmp_eq_u64_e32 vcc_lo, 0, v[8:9]
	s_delay_alu instid0(VALU_DEP_2)
	v_lshrrev_b64 v[2:3], v4, v[2:3]
	v_cndmask_b32_e32 v4, v5, v6, vcc_lo
.LBB67_5:
	s_and_not1_saveexec_b32 s0, s0
; %bb.6:
	s_delay_alu instid0(VALU_DEP_2)
	v_bfe_u32 v4, v2, 23, 1
; %bb.7:
	s_or_b32 exec_lo, exec_lo, s0
	s_delay_alu instid0(VALU_DEP_3) | instskip(NEXT) | instid1(VALU_DEP_2)
	v_lshrrev_b64 v[2:3], 20, v[2:3]
	v_cmp_gt_i32_e32 vcc_lo, 16, v4
	v_min_i32_e32 v5, 15, v4
	v_cmp_eq_u32_e64 s0, 0, v4
	s_delay_alu instid0(VALU_DEP_4) | instskip(NEXT) | instid1(VALU_DEP_3)
	v_dual_cndmask_b32 v3, 0, v3 :: v_dual_cndmask_b32 v2, 7, v2
	v_lshlrev_b32_e32 v5, 3, v5
	s_delay_alu instid0(VALU_DEP_2) | instskip(NEXT) | instid1(VALU_DEP_2)
	v_cmp_eq_u64_e32 vcc_lo, 0, v[2:3]
	v_and_or_b32 v2, v2, 7, v5
	s_and_b32 s0, s0, vcc_lo
	s_delay_alu instid0(VALU_DEP_1) | instid1(SALU_CYCLE_1)
	v_cndmask_b32_e64 v2, v2, 0, s0
.LBB67_8:
	s_or_b32 exec_lo, exec_lo, s3
.LBB67_9:
	s_delay_alu instid0(SALU_CYCLE_1)
	s_or_b32 exec_lo, exec_lo, s2
	v_add_nc_u64_e32 v[0:1], s[4:5], v[0:1]
	global_store_b8 v[0:1], v2, off
.LBB67_10:
	s_endpgm
	.section	.rodata,"a",@progbits
	.p2align	6, 0x0
	.amdhsa_kernel _Z11fill_kernelI12hipblaslt_f8Z21hipblaslt_init_deviceIS0_Ev8ABC_dims24hipblaslt_initializationbPT_mmmmmEUlmE0_EvS5_mmT0_
		.amdhsa_group_segment_fixed_size 0
		.amdhsa_private_segment_fixed_size 0
		.amdhsa_kernarg_size 288
		.amdhsa_user_sgpr_count 2
		.amdhsa_user_sgpr_dispatch_ptr 0
		.amdhsa_user_sgpr_queue_ptr 0
		.amdhsa_user_sgpr_kernarg_segment_ptr 1
		.amdhsa_user_sgpr_dispatch_id 0
		.amdhsa_user_sgpr_kernarg_preload_length 0
		.amdhsa_user_sgpr_kernarg_preload_offset 0
		.amdhsa_user_sgpr_private_segment_size 0
		.amdhsa_wavefront_size32 1
		.amdhsa_uses_dynamic_stack 0
		.amdhsa_enable_private_segment 0
		.amdhsa_system_sgpr_workgroup_id_x 1
		.amdhsa_system_sgpr_workgroup_id_y 0
		.amdhsa_system_sgpr_workgroup_id_z 0
		.amdhsa_system_sgpr_workgroup_info 0
		.amdhsa_system_vgpr_workitem_id 0
		.amdhsa_next_free_vgpr 12
		.amdhsa_next_free_sgpr 10
		.amdhsa_named_barrier_count 0
		.amdhsa_reserve_vcc 1
		.amdhsa_float_round_mode_32 0
		.amdhsa_float_round_mode_16_64 0
		.amdhsa_float_denorm_mode_32 3
		.amdhsa_float_denorm_mode_16_64 3
		.amdhsa_fp16_overflow 0
		.amdhsa_memory_ordered 1
		.amdhsa_forward_progress 1
		.amdhsa_inst_pref_size 7
		.amdhsa_round_robin_scheduling 0
		.amdhsa_exception_fp_ieee_invalid_op 0
		.amdhsa_exception_fp_denorm_src 0
		.amdhsa_exception_fp_ieee_div_zero 0
		.amdhsa_exception_fp_ieee_overflow 0
		.amdhsa_exception_fp_ieee_underflow 0
		.amdhsa_exception_fp_ieee_inexact 0
		.amdhsa_exception_int_div_zero 0
	.end_amdhsa_kernel
	.section	.text._Z11fill_kernelI12hipblaslt_f8Z21hipblaslt_init_deviceIS0_Ev8ABC_dims24hipblaslt_initializationbPT_mmmmmEUlmE0_EvS5_mmT0_,"axG",@progbits,_Z11fill_kernelI12hipblaslt_f8Z21hipblaslt_init_deviceIS0_Ev8ABC_dims24hipblaslt_initializationbPT_mmmmmEUlmE0_EvS5_mmT0_,comdat
.Lfunc_end67:
	.size	_Z11fill_kernelI12hipblaslt_f8Z21hipblaslt_init_deviceIS0_Ev8ABC_dims24hipblaslt_initializationbPT_mmmmmEUlmE0_EvS5_mmT0_, .Lfunc_end67-_Z11fill_kernelI12hipblaslt_f8Z21hipblaslt_init_deviceIS0_Ev8ABC_dims24hipblaslt_initializationbPT_mmmmmEUlmE0_EvS5_mmT0_
                                        ; -- End function
	.set _Z11fill_kernelI12hipblaslt_f8Z21hipblaslt_init_deviceIS0_Ev8ABC_dims24hipblaslt_initializationbPT_mmmmmEUlmE0_EvS5_mmT0_.num_vgpr, 12
	.set _Z11fill_kernelI12hipblaslt_f8Z21hipblaslt_init_deviceIS0_Ev8ABC_dims24hipblaslt_initializationbPT_mmmmmEUlmE0_EvS5_mmT0_.num_agpr, 0
	.set _Z11fill_kernelI12hipblaslt_f8Z21hipblaslt_init_deviceIS0_Ev8ABC_dims24hipblaslt_initializationbPT_mmmmmEUlmE0_EvS5_mmT0_.numbered_sgpr, 10
	.set _Z11fill_kernelI12hipblaslt_f8Z21hipblaslt_init_deviceIS0_Ev8ABC_dims24hipblaslt_initializationbPT_mmmmmEUlmE0_EvS5_mmT0_.num_named_barrier, 0
	.set _Z11fill_kernelI12hipblaslt_f8Z21hipblaslt_init_deviceIS0_Ev8ABC_dims24hipblaslt_initializationbPT_mmmmmEUlmE0_EvS5_mmT0_.private_seg_size, 0
	.set _Z11fill_kernelI12hipblaslt_f8Z21hipblaslt_init_deviceIS0_Ev8ABC_dims24hipblaslt_initializationbPT_mmmmmEUlmE0_EvS5_mmT0_.uses_vcc, 1
	.set _Z11fill_kernelI12hipblaslt_f8Z21hipblaslt_init_deviceIS0_Ev8ABC_dims24hipblaslt_initializationbPT_mmmmmEUlmE0_EvS5_mmT0_.uses_flat_scratch, 0
	.set _Z11fill_kernelI12hipblaslt_f8Z21hipblaslt_init_deviceIS0_Ev8ABC_dims24hipblaslt_initializationbPT_mmmmmEUlmE0_EvS5_mmT0_.has_dyn_sized_stack, 0
	.set _Z11fill_kernelI12hipblaslt_f8Z21hipblaslt_init_deviceIS0_Ev8ABC_dims24hipblaslt_initializationbPT_mmmmmEUlmE0_EvS5_mmT0_.has_recursion, 0
	.set _Z11fill_kernelI12hipblaslt_f8Z21hipblaslt_init_deviceIS0_Ev8ABC_dims24hipblaslt_initializationbPT_mmmmmEUlmE0_EvS5_mmT0_.has_indirect_call, 0
	.section	.AMDGPU.csdata,"",@progbits
; Kernel info:
; codeLenInByte = 836
; TotalNumSgprs: 12
; NumVgprs: 12
; ScratchSize: 0
; MemoryBound: 0
; FloatMode: 240
; IeeeMode: 1
; LDSByteSize: 0 bytes/workgroup (compile time only)
; SGPRBlocks: 0
; VGPRBlocks: 0
; NumSGPRsForWavesPerEU: 12
; NumVGPRsForWavesPerEU: 12
; NamedBarCnt: 0
; Occupancy: 16
; WaveLimiterHint : 0
; COMPUTE_PGM_RSRC2:SCRATCH_EN: 0
; COMPUTE_PGM_RSRC2:USER_SGPR: 2
; COMPUTE_PGM_RSRC2:TRAP_HANDLER: 0
; COMPUTE_PGM_RSRC2:TGID_X_EN: 1
; COMPUTE_PGM_RSRC2:TGID_Y_EN: 0
; COMPUTE_PGM_RSRC2:TGID_Z_EN: 0
; COMPUTE_PGM_RSRC2:TIDIG_COMP_CNT: 0
	.section	.text._Z11fill_kernelI12hipblaslt_f8Z21hipblaslt_init_deviceIS0_Ev8ABC_dims24hipblaslt_initializationbPT_mmmmmEUlmE1_EvS5_mmT0_,"axG",@progbits,_Z11fill_kernelI12hipblaslt_f8Z21hipblaslt_init_deviceIS0_Ev8ABC_dims24hipblaslt_initializationbPT_mmmmmEUlmE1_EvS5_mmT0_,comdat
	.protected	_Z11fill_kernelI12hipblaslt_f8Z21hipblaslt_init_deviceIS0_Ev8ABC_dims24hipblaslt_initializationbPT_mmmmmEUlmE1_EvS5_mmT0_ ; -- Begin function _Z11fill_kernelI12hipblaslt_f8Z21hipblaslt_init_deviceIS0_Ev8ABC_dims24hipblaslt_initializationbPT_mmmmmEUlmE1_EvS5_mmT0_
	.globl	_Z11fill_kernelI12hipblaslt_f8Z21hipblaslt_init_deviceIS0_Ev8ABC_dims24hipblaslt_initializationbPT_mmmmmEUlmE1_EvS5_mmT0_
	.p2align	8
	.type	_Z11fill_kernelI12hipblaslt_f8Z21hipblaslt_init_deviceIS0_Ev8ABC_dims24hipblaslt_initializationbPT_mmmmmEUlmE1_EvS5_mmT0_,@function
_Z11fill_kernelI12hipblaslt_f8Z21hipblaslt_init_deviceIS0_Ev8ABC_dims24hipblaslt_initializationbPT_mmmmmEUlmE1_EvS5_mmT0_: ; @_Z11fill_kernelI12hipblaslt_f8Z21hipblaslt_init_deviceIS0_Ev8ABC_dims24hipblaslt_initializationbPT_mmmmmEUlmE1_EvS5_mmT0_
; %bb.0:
	s_load_b32 s2, s[0:1], 0x34
	s_bfe_u32 s12, ttmp6, 0x4000c
	s_load_b256 s[4:11], s[0:1], 0x0
	s_add_co_i32 s12, s12, 1
	s_and_b32 s3, ttmp6, 15
	s_mul_i32 s12, ttmp9, s12
	s_getreg_b32 s13, hwreg(HW_REG_IB_STS2, 6, 4)
	s_add_co_i32 s3, s3, s12
	v_mov_b32_e32 v3, 0
	s_wait_kmcnt 0x0
	s_and_b32 s2, s2, 0xffff
	s_cmp_eq_u32 s13, 0
	s_cselect_b32 s3, ttmp9, s3
	s_delay_alu instid0(SALU_CYCLE_1) | instskip(SKIP_1) | instid1(VALU_DEP_1)
	v_mad_u32 v2, s3, s2, v0
	s_mov_b32 s2, exec_lo
	v_cmpx_gt_u64_e64 s[6:7], v[2:3]
	s_cbranch_execz .LBB68_18
; %bb.1:
	v_add_nc_u64_e32 v[0:1], s[8:9], v[2:3]
	s_mov_b32 s2, 0x19660d
	v_mov_b32_e32 v8, 0x7f
	s_mov_b32 s6, exec_lo
	s_delay_alu instid0(VALU_DEP_2) | instskip(SKIP_1) | instid1(VALU_DEP_1)
	v_mad_nc_u64_u32 v[4:5], v0, s2, 0x3c6ef35f
	s_load_b64 s[2:3], s[0:1], 0x20
	v_mad_u32 v5, 0x19660d, v1, v5
	s_delay_alu instid0(VALU_DEP_1) | instskip(NEXT) | instid1(VALU_DEP_1)
	v_lshlrev_b64_e32 v[6:7], 13, v[4:5]
	v_xor_b32_e32 v5, v7, v5
	s_delay_alu instid0(VALU_DEP_2) | instskip(NEXT) | instid1(VALU_DEP_1)
	v_xor_b32_e32 v4, v6, v4
	v_lshrrev_b64 v[6:7], 17, v[4:5]
	s_delay_alu instid0(VALU_DEP_1) | instskip(NEXT) | instid1(VALU_DEP_2)
	v_xor_b32_e32 v5, v7, v5
	v_xor_b32_e32 v4, v6, v4
	s_delay_alu instid0(VALU_DEP_1) | instskip(NEXT) | instid1(VALU_DEP_1)
	v_lshlrev_b64_e32 v[6:7], 5, v[4:5]
	v_xor_b32_e32 v5, v7, v5
	s_delay_alu instid0(VALU_DEP_2) | instskip(NEXT) | instid1(VALU_DEP_1)
	v_xor_b32_e32 v4, v6, v4
	v_lshlrev_b64_e32 v[6:7], 13, v[4:5]
	s_delay_alu instid0(VALU_DEP_1) | instskip(NEXT) | instid1(VALU_DEP_2)
	v_xor_b32_e32 v5, v7, v5
	v_xor_b32_e32 v4, v6, v4
	s_delay_alu instid0(VALU_DEP_1) | instskip(NEXT) | instid1(VALU_DEP_1)
	v_lshrrev_b64 v[6:7], 17, v[4:5]
	v_xor_b32_e32 v5, v7, v5
	s_delay_alu instid0(VALU_DEP_2) | instskip(NEXT) | instid1(VALU_DEP_1)
	v_xor_b32_e32 v4, v6, v4
	v_lshlrev_b64_e32 v[6:7], 5, v[4:5]
	s_delay_alu instid0(VALU_DEP_1) | instskip(NEXT) | instid1(VALU_DEP_2)
	v_xor_b32_e32 v5, v7, v5
	v_xor_b32_e32 v4, v6, v4
	s_delay_alu instid0(VALU_DEP_1) | instskip(NEXT) | instid1(VALU_DEP_1)
	v_lshlrev_b64_e32 v[6:7], 13, v[4:5]
	v_xor_b32_e32 v2, v7, v5
	s_delay_alu instid0(VALU_DEP_2) | instskip(NEXT) | instid1(VALU_DEP_1)
	v_xor_b32_e32 v4, v6, v4
	v_alignbit_b32 v2, v2, v4, 17
	s_delay_alu instid0(VALU_DEP_1) | instskip(NEXT) | instid1(VALU_DEP_1)
	v_xor_b32_e32 v2, v2, v4
	v_lshlrev_b32_e32 v4, 5, v2
	s_delay_alu instid0(VALU_DEP_1) | instskip(NEXT) | instid1(VALU_DEP_1)
	v_xor_b32_e32 v2, v4, v2
	v_mul_hi_u32 v4, 0xcccccccd, v2
	s_delay_alu instid0(VALU_DEP_1) | instskip(NEXT) | instid1(VALU_DEP_1)
	v_lshrrev_b32_e32 v4, 3, v4
	v_mul_lo_u32 v4, v4, 10
	s_delay_alu instid0(VALU_DEP_1) | instskip(NEXT) | instid1(VALU_DEP_1)
	v_sub_nc_u32_e32 v2, v2, v4
	v_add_nc_u32_e32 v2, 1, v2
	s_delay_alu instid0(VALU_DEP_1) | instskip(NEXT) | instid1(VALU_DEP_1)
	v_cvt_f32_u32_e32 v4, v2
	v_and_b32_e32 v2, 0x7f800000, v4
	s_delay_alu instid0(VALU_DEP_1)
	v_cmpx_ne_u64_e32 0x7f800000, v[2:3]
	s_cbranch_execz .LBB68_9
; %bb.2:
	v_mov_b32_e32 v8, 0x7e
	s_mov_b32 s7, exec_lo
	v_cmpx_gt_u32_e32 0x43e00001, v4
	s_cbranch_execz .LBB68_8
; %bb.3:
	v_lshrrev_b32_e32 v10, 23, v4
	v_and_b32_e32 v5, 0x7fffff, v4
	v_cmp_gt_u32_e32 vcc_lo, 0x800000, v4
	s_delay_alu instid0(VALU_DEP_3) | instskip(NEXT) | instid1(VALU_DEP_1)
	v_sub_nc_u32_e64 v2, 0x79, v10 clamp
	v_cndmask_b32_e64 v11, v2, 0x78, vcc_lo
	s_delay_alu instid0(VALU_DEP_4) | instskip(NEXT) | instid1(VALU_DEP_2)
	v_or_b32_e32 v2, 0x800000, v5
	v_dual_mov_b32 v3, 0 :: v_dual_add_nc_u32 v4, 20, v11
	s_delay_alu instid0(VALU_DEP_2) | instskip(NEXT) | instid1(VALU_DEP_2)
	v_cndmask_b32_e32 v2, v2, v5, vcc_lo
	v_lshlrev_b64_e64 v[4:5], v4, -1
	s_delay_alu instid0(VALU_DEP_2) | instskip(SKIP_2) | instid1(VALU_DEP_2)
	v_lshrrev_b64 v[8:9], v11, v[2:3]
	v_add_nc_u32_e32 v6, 19, v11
	v_add_nc_u32_e32 v9, 0xffffff88, v10
	v_lshlrev_b64_e64 v[6:7], v6, 1
	v_bfi_b32 v5, v5, 0, 0
	v_bfi_b32 v4, v4, 0, v2
	v_and_b32_e32 v2, 0x100000, v8
	s_wait_xcnt 0x0
	s_delay_alu instid0(VALU_DEP_2) | instskip(NEXT) | instid1(VALU_DEP_2)
	v_cmp_eq_u64_e64 s0, v[4:5], v[6:7]
	v_cmp_eq_u64_e64 s1, 0, v[2:3]
	v_cndmask_b32_e64 v2, v9, 0xffffff89, vcc_lo
	v_lshrrev_b32_e32 v4, 23, v8
	s_delay_alu instid0(VALU_DEP_1) | instskip(SKIP_3) | instid1(VALU_DEP_1)
	v_add3_u32 v5, v2, v11, v4
	s_and_b32 vcc_lo, s1, s0
	s_mov_b32 s0, exec_lo
	v_subrev_co_ci_u32_e64 v6, null, 0, v8, vcc_lo
                                        ; implicit-def: $vgpr4
	v_and_b32_e32 v2, 0xfffff, v6
	s_delay_alu instid0(VALU_DEP_1) | instskip(NEXT) | instid1(VALU_DEP_1)
	v_dual_add_nc_u32 v6, -1, v5 :: v_dual_add_nc_u32 v2, v2, v8
	v_cmpx_ne_u32_e32 0, v6
	s_xor_b32 s0, exec_lo, s0
	s_cbranch_execz .LBB68_5
; %bb.4:
	s_delay_alu instid0(VALU_DEP_2) | instskip(SKIP_2) | instid1(VALU_DEP_2)
	v_and_b32_e32 v8, 0x1000000, v2
	v_mov_b32_e32 v9, v3
	v_bfe_u32 v4, v2, 24, 1
	v_cmp_eq_u64_e32 vcc_lo, 0, v[8:9]
	s_delay_alu instid0(VALU_DEP_2)
	v_lshrrev_b64 v[2:3], v4, v[2:3]
	v_cndmask_b32_e32 v4, v5, v6, vcc_lo
.LBB68_5:
	s_and_not1_saveexec_b32 s0, s0
; %bb.6:
	s_delay_alu instid0(VALU_DEP_2)
	v_bfe_u32 v4, v2, 23, 1
; %bb.7:
	s_or_b32 exec_lo, exec_lo, s0
	s_delay_alu instid0(VALU_DEP_3) | instskip(NEXT) | instid1(VALU_DEP_2)
	v_lshrrev_b64 v[2:3], 20, v[2:3]
	v_cmp_gt_i32_e32 vcc_lo, 16, v4
	v_min_i32_e32 v5, 15, v4
	v_cmp_eq_u32_e64 s0, 0, v4
	s_delay_alu instid0(VALU_DEP_4) | instskip(NEXT) | instid1(VALU_DEP_3)
	v_dual_cndmask_b32 v3, 0, v3 :: v_dual_cndmask_b32 v2, 7, v2
	v_lshlrev_b32_e32 v5, 3, v5
	s_delay_alu instid0(VALU_DEP_2) | instskip(NEXT) | instid1(VALU_DEP_2)
	v_cmp_eq_u64_e32 vcc_lo, 0, v[2:3]
	v_and_or_b32 v2, v2, 7, v5
	s_and_b32 s0, s0, vcc_lo
	s_delay_alu instid0(VALU_DEP_1) | instid1(SALU_CYCLE_1)
	v_cndmask_b32_e64 v8, v2, 0, s0
.LBB68_8:
	s_or_b32 exec_lo, exec_lo, s7
.LBB68_9:
	s_delay_alu instid0(SALU_CYCLE_1) | instskip(SKIP_3) | instid1(VALU_DEP_1)
	s_or_b32 exec_lo, exec_lo, s6
	v_dual_mov_b32 v4, 0 :: v_dual_bitop2_b32 v5, s11, v1 bitop3:0x54
                                        ; implicit-def: $vgpr2_vgpr3
	s_wait_xcnt 0x0
	s_mov_b32 s0, exec_lo
	v_cmpx_ne_u64_e32 0, v[4:5]
	s_xor_b32 s1, exec_lo, s0
	s_cbranch_execz .LBB68_11
; %bb.10:
	s_cvt_f32_u32 s0, s10
	s_cvt_f32_u32 s6, s11
	s_sub_nc_u64 s[8:9], 0, s[10:11]
	s_mov_b32 s15, 0
	v_dual_mov_b32 v2, v0 :: v_dual_mov_b32 v3, v4
	s_fmamk_f32 s0, s6, 0x4f800000, s0
	v_dual_mov_b32 v6, v1 :: v_dual_mov_b32 v7, v4
	v_dual_mov_b32 v13, v4 :: v_dual_mov_b32 v5, v4
	s_delay_alu instid0(SALU_CYCLE_1) | instskip(NEXT) | instid1(TRANS32_DEP_1)
	v_s_rcp_f32 s0, s0
	s_mul_f32 s0, s0, 0x5f7ffffc
	s_delay_alu instid0(SALU_CYCLE_3) | instskip(NEXT) | instid1(SALU_CYCLE_3)
	s_mul_f32 s6, s0, 0x2f800000
	s_trunc_f32 s6, s6
	s_delay_alu instid0(SALU_CYCLE_3) | instskip(SKIP_1) | instid1(SALU_CYCLE_2)
	s_fmamk_f32 s0, s6, 0xcf800000, s0
	s_cvt_u32_f32 s7, s6
	s_cvt_u32_f32 s6, s0
	s_delay_alu instid0(SALU_CYCLE_3) | instskip(NEXT) | instid1(SALU_CYCLE_1)
	s_mul_u64 s[12:13], s[8:9], s[6:7]
	s_mul_hi_u32 s17, s6, s13
	s_mul_i32 s16, s6, s13
	s_mul_hi_u32 s14, s6, s12
	s_mul_i32 s18, s7, s12
	s_add_nc_u64 s[16:17], s[14:15], s[16:17]
	s_mul_hi_u32 s0, s7, s12
	s_mul_hi_u32 s19, s7, s13
	s_mul_i32 s12, s7, s13
	s_add_co_u32 s13, s16, s18
	s_add_co_ci_u32 s14, s17, s0
	s_add_co_ci_u32 s13, s19, 0
	s_delay_alu instid0(SALU_CYCLE_1) | instskip(NEXT) | instid1(SALU_CYCLE_1)
	s_add_nc_u64 s[12:13], s[14:15], s[12:13]
	s_add_co_u32 s6, s6, s12
	s_cselect_b32 s0, -1, 0
	s_delay_alu instid0(SALU_CYCLE_1) | instskip(SKIP_1) | instid1(SALU_CYCLE_1)
	s_cmp_lg_u32 s0, 0
	s_add_co_ci_u32 s7, s7, s13
	s_mul_u64 s[8:9], s[8:9], s[6:7]
	s_delay_alu instid0(SALU_CYCLE_1)
	s_mul_hi_u32 s13, s6, s9
	s_mul_i32 s12, s6, s9
	s_mul_hi_u32 s14, s6, s8
	s_mul_i32 s16, s7, s8
	s_add_nc_u64 s[12:13], s[14:15], s[12:13]
	s_mul_hi_u32 s0, s7, s8
	s_mul_hi_u32 s17, s7, s9
	s_mul_i32 s8, s7, s9
	s_add_co_u32 s9, s12, s16
	s_add_co_ci_u32 s14, s13, s0
	s_add_co_ci_u32 s9, s17, 0
	s_delay_alu instid0(SALU_CYCLE_1) | instskip(NEXT) | instid1(SALU_CYCLE_1)
	s_add_nc_u64 s[8:9], s[14:15], s[8:9]
	s_add_co_u32 s0, s6, s8
	s_cselect_b32 s6, -1, 0
	v_nop
	v_mul_hi_u32 v12, v0, s0
	s_cmp_lg_u32 s6, 0
	s_add_co_ci_u32 s14, s7, s9
	s_mov_b64 s[6:7], 0xffffffff
	v_mul_u64_e32 v[2:3], s[14:15], v[2:3]
	s_and_b64 s[6:7], s[0:1], s[6:7]
	s_delay_alu instid0(SALU_CYCLE_1) | instskip(SKIP_1) | instid1(VALU_DEP_3)
	v_mul_u64_e32 v[10:11], s[6:7], v[6:7]
	v_mul_u64_e32 v[6:7], s[14:15], v[6:7]
	v_add_nc_u64_e32 v[2:3], v[12:13], v[2:3]
	s_delay_alu instid0(VALU_DEP_1) | instskip(NEXT) | instid1(VALU_DEP_2)
	v_add_co_u32 v2, vcc_lo, v2, v10
	v_add_co_ci_u32_e32 v4, vcc_lo, v3, v11, vcc_lo
	s_delay_alu instid0(VALU_DEP_4) | instskip(NEXT) | instid1(VALU_DEP_1)
	v_add_co_ci_u32_e32 v7, vcc_lo, 0, v7, vcc_lo
	v_add_nc_u64_e32 v[2:3], v[4:5], v[6:7]
	s_delay_alu instid0(VALU_DEP_1) | instskip(NEXT) | instid1(VALU_DEP_1)
	v_mul_u64_e32 v[2:3], s[10:11], v[2:3]
	v_sub_nc_u32_e32 v4, v1, v3
	s_delay_alu instid0(VALU_DEP_2) | instskip(NEXT) | instid1(VALU_DEP_1)
	v_sub_co_u32 v2, vcc_lo, v0, v2
	v_sub_co_ci_u32_e64 v3, null, v1, v3, vcc_lo
	s_delay_alu instid0(VALU_DEP_3) | instskip(NEXT) | instid1(VALU_DEP_3)
	v_subrev_co_ci_u32_e64 v4, null, s11, v4, vcc_lo
	v_sub_co_u32 v5, vcc_lo, v2, s10
	v_cmp_le_u32_e64 s0, s10, v2
	s_delay_alu instid0(VALU_DEP_3) | instskip(SKIP_1) | instid1(VALU_DEP_3)
	v_subrev_co_ci_u32_e64 v6, null, 0, v4, vcc_lo
	v_subrev_co_ci_u32_e64 v4, null, s11, v4, vcc_lo
	v_cndmask_b32_e64 v7, 0, -1, s0
	v_cmp_le_u32_e64 s0, s10, v5
	v_cmp_le_u32_e32 vcc_lo, s11, v3
	s_delay_alu instid0(VALU_DEP_2) | instskip(SKIP_3) | instid1(VALU_DEP_3)
	v_cndmask_b32_e64 v9, 0, -1, s0
	v_cmp_le_u32_e64 s0, s11, v6
	v_cndmask_b32_e64 v11, 0, -1, vcc_lo
	v_cmp_eq_u32_e32 vcc_lo, s11, v6
	v_cndmask_b32_e64 v10, 0, -1, s0
	v_cmp_eq_u32_e64 s0, s11, v3
	s_delay_alu instid0(VALU_DEP_2) | instskip(SKIP_1) | instid1(VALU_DEP_1)
	v_cndmask_b32_e32 v9, v10, v9, vcc_lo
	v_sub_co_u32 v10, vcc_lo, v5, s10
	v_subrev_co_ci_u32_e64 v4, null, 0, v4, vcc_lo
	s_delay_alu instid0(VALU_DEP_3) | instskip(NEXT) | instid1(VALU_DEP_2)
	v_cmp_ne_u32_e32 vcc_lo, 0, v9
	v_dual_cndmask_b32 v7, v11, v7, s0 :: v_dual_cndmask_b32 v4, v6, v4, vcc_lo
	s_delay_alu instid0(VALU_DEP_4) | instskip(NEXT) | instid1(VALU_DEP_2)
	v_cndmask_b32_e32 v5, v5, v10, vcc_lo
	v_cmp_ne_u32_e32 vcc_lo, 0, v7
	s_delay_alu instid0(VALU_DEP_2)
	v_dual_cndmask_b32 v3, v3, v4 :: v_dual_cndmask_b32 v2, v2, v5
.LBB68_11:
	s_and_not1_saveexec_b32 s0, s1
	s_cbranch_execz .LBB68_13
; %bb.12:
	v_cvt_f32_u32_e32 v2, s10
	s_sub_co_i32 s1, 0, s10
	s_delay_alu instid0(VALU_DEP_1) | instskip(SKIP_1) | instid1(TRANS32_DEP_1)
	v_rcp_iflag_f32_e32 v2, v2
	v_nop
	v_mul_f32_e32 v2, 0x4f7ffffe, v2
	s_delay_alu instid0(VALU_DEP_1) | instskip(NEXT) | instid1(VALU_DEP_1)
	v_cvt_u32_f32_e32 v2, v2
	v_mul_lo_u32 v3, s1, v2
	s_delay_alu instid0(VALU_DEP_1) | instskip(NEXT) | instid1(VALU_DEP_1)
	v_mul_hi_u32 v3, v2, v3
	v_add_nc_u32_e32 v2, v2, v3
	s_delay_alu instid0(VALU_DEP_1) | instskip(NEXT) | instid1(VALU_DEP_1)
	v_mul_hi_u32 v2, v0, v2
	v_mul_lo_u32 v2, v2, s10
	s_delay_alu instid0(VALU_DEP_1) | instskip(NEXT) | instid1(VALU_DEP_1)
	v_sub_nc_u32_e32 v2, v0, v2
	v_subrev_nc_u32_e32 v3, s10, v2
	v_cmp_le_u32_e32 vcc_lo, s10, v2
	s_delay_alu instid0(VALU_DEP_2) | instskip(NEXT) | instid1(VALU_DEP_1)
	v_cndmask_b32_e32 v2, v2, v3, vcc_lo
	v_subrev_nc_u32_e32 v3, s10, v2
	v_cmp_le_u32_e32 vcc_lo, s10, v2
	s_delay_alu instid0(VALU_DEP_2)
	v_dual_cndmask_b32 v2, v2, v3 :: v_dual_mov_b32 v3, 0
.LBB68_13:
	s_or_b32 exec_lo, exec_lo, s0
	s_wait_kmcnt 0x0
	s_delay_alu instid0(VALU_DEP_1) | instskip(SKIP_1) | instid1(VALU_DEP_1)
	v_dual_mov_b32 v4, 0 :: v_dual_bitop2_b32 v5, s3, v3 bitop3:0x54
                                        ; implicit-def: $vgpr6_vgpr7
	s_mov_b32 s0, exec_lo
	v_cmpx_ne_u64_e32 0, v[4:5]
	s_xor_b32 s1, exec_lo, s0
	s_cbranch_execz .LBB68_15
; %bb.14:
	s_cvt_f32_u32 s0, s2
	s_cvt_f32_u32 s6, s3
	s_sub_nc_u64 s[8:9], 0, s[2:3]
	s_mov_b32 s13, 0
	v_dual_mov_b32 v6, v2 :: v_dual_mov_b32 v7, v4
	s_fmamk_f32 s0, s6, 0x4f800000, s0
	v_dual_mov_b32 v10, v3 :: v_dual_mov_b32 v11, v4
	v_dual_mov_b32 v15, v4 :: v_dual_mov_b32 v5, v4
	s_delay_alu instid0(SALU_CYCLE_1) | instskip(NEXT) | instid1(TRANS32_DEP_1)
	v_s_rcp_f32 s0, s0
	s_mul_f32 s0, s0, 0x5f7ffffc
	s_delay_alu instid0(SALU_CYCLE_3) | instskip(NEXT) | instid1(SALU_CYCLE_3)
	s_mul_f32 s6, s0, 0x2f800000
	s_trunc_f32 s6, s6
	s_delay_alu instid0(SALU_CYCLE_3) | instskip(SKIP_1) | instid1(SALU_CYCLE_2)
	s_fmamk_f32 s0, s6, 0xcf800000, s0
	s_cvt_u32_f32 s7, s6
	s_cvt_u32_f32 s6, s0
	s_delay_alu instid0(SALU_CYCLE_3) | instskip(NEXT) | instid1(SALU_CYCLE_1)
	s_mul_u64 s[10:11], s[8:9], s[6:7]
	s_mul_hi_u32 s15, s6, s11
	s_mul_i32 s14, s6, s11
	s_mul_hi_u32 s12, s6, s10
	s_mul_i32 s16, s7, s10
	s_add_nc_u64 s[14:15], s[12:13], s[14:15]
	s_mul_hi_u32 s0, s7, s10
	s_mul_hi_u32 s17, s7, s11
	s_mul_i32 s10, s7, s11
	s_add_co_u32 s11, s14, s16
	s_add_co_ci_u32 s12, s15, s0
	s_add_co_ci_u32 s11, s17, 0
	s_delay_alu instid0(SALU_CYCLE_1) | instskip(NEXT) | instid1(SALU_CYCLE_1)
	s_add_nc_u64 s[10:11], s[12:13], s[10:11]
	s_add_co_u32 s6, s6, s10
	s_cselect_b32 s0, -1, 0
	s_delay_alu instid0(SALU_CYCLE_1) | instskip(SKIP_1) | instid1(SALU_CYCLE_1)
	s_cmp_lg_u32 s0, 0
	s_add_co_ci_u32 s7, s7, s11
	s_mul_u64 s[8:9], s[8:9], s[6:7]
	s_delay_alu instid0(SALU_CYCLE_1)
	s_mul_hi_u32 s11, s6, s9
	s_mul_i32 s10, s6, s9
	s_mul_hi_u32 s12, s6, s8
	s_mul_i32 s14, s7, s8
	s_add_nc_u64 s[10:11], s[12:13], s[10:11]
	s_mul_hi_u32 s0, s7, s8
	s_mul_hi_u32 s15, s7, s9
	s_mul_i32 s8, s7, s9
	s_add_co_u32 s9, s10, s14
	s_add_co_ci_u32 s12, s11, s0
	s_add_co_ci_u32 s9, s15, 0
	s_delay_alu instid0(SALU_CYCLE_1) | instskip(NEXT) | instid1(SALU_CYCLE_1)
	s_add_nc_u64 s[8:9], s[12:13], s[8:9]
	s_add_co_u32 s0, s6, s8
	s_cselect_b32 s6, -1, 0
	v_nop
	v_mul_hi_u32 v14, v2, s0
	s_cmp_lg_u32 s6, 0
	s_add_co_ci_u32 s12, s7, s9
	s_mov_b64 s[6:7], 0xffffffff
	v_mul_u64_e32 v[6:7], s[12:13], v[6:7]
	s_and_b64 s[6:7], s[0:1], s[6:7]
	s_delay_alu instid0(SALU_CYCLE_1) | instskip(SKIP_1) | instid1(VALU_DEP_3)
	v_mul_u64_e32 v[12:13], s[6:7], v[10:11]
	v_mul_u64_e32 v[10:11], s[12:13], v[10:11]
	v_add_nc_u64_e32 v[6:7], v[14:15], v[6:7]
	s_delay_alu instid0(VALU_DEP_1) | instskip(NEXT) | instid1(VALU_DEP_2)
	v_add_co_u32 v4, vcc_lo, v6, v12
	v_add_co_ci_u32_e32 v4, vcc_lo, v7, v13, vcc_lo
	s_delay_alu instid0(VALU_DEP_4) | instskip(NEXT) | instid1(VALU_DEP_1)
	v_add_co_ci_u32_e32 v11, vcc_lo, 0, v11, vcc_lo
	v_add_nc_u64_e32 v[4:5], v[4:5], v[10:11]
	s_delay_alu instid0(VALU_DEP_1) | instskip(SKIP_2) | instid1(VALU_DEP_3)
	v_mul_u64_e32 v[6:7], s[2:3], v[4:5]
	v_add_nc_u64_e32 v[10:11], 2, v[4:5]
	v_add_nc_u64_e32 v[12:13], 1, v[4:5]
	v_sub_nc_u32_e32 v9, v3, v7
	s_delay_alu instid0(VALU_DEP_4) | instskip(NEXT) | instid1(VALU_DEP_1)
	v_sub_co_u32 v6, vcc_lo, v2, v6
	v_sub_co_ci_u32_e64 v3, null, v3, v7, vcc_lo
	s_delay_alu instid0(VALU_DEP_3) | instskip(NEXT) | instid1(VALU_DEP_3)
	v_subrev_co_ci_u32_e64 v9, null, s3, v9, vcc_lo
	v_sub_co_u32 v5, s0, v6, s2
	s_delay_alu instid0(VALU_DEP_1) | instskip(NEXT) | instid1(VALU_DEP_2)
	v_subrev_co_ci_u32_e64 v9, null, 0, v9, s0
	v_cmp_le_u32_e32 vcc_lo, s2, v5
	v_cndmask_b32_e64 v5, 0, -1, vcc_lo
	s_delay_alu instid0(VALU_DEP_3)
	v_cmp_le_u32_e32 vcc_lo, s3, v9
	v_cndmask_b32_e64 v7, 0, -1, vcc_lo
	v_cmp_le_u32_e32 vcc_lo, s2, v6
	v_cndmask_b32_e64 v6, 0, -1, vcc_lo
	;; [unrolled: 2-line block ×3, first 2 shown]
	v_cmp_eq_u32_e32 vcc_lo, s3, v9
	v_cndmask_b32_e32 v5, v7, v5, vcc_lo
	v_cmp_eq_u32_e32 vcc_lo, s3, v3
	s_delay_alu instid0(VALU_DEP_4) | instskip(NEXT) | instid1(VALU_DEP_3)
	v_cndmask_b32_e32 v3, v11, v6, vcc_lo
	v_cmp_ne_u32_e32 vcc_lo, 0, v5
	v_cndmask_b32_e32 v5, v12, v10, vcc_lo
	s_delay_alu instid0(VALU_DEP_3) | instskip(NEXT) | instid1(VALU_DEP_2)
	v_cmp_ne_u32_e32 vcc_lo, 0, v3
	v_cndmask_b32_e32 v6, v4, v5, vcc_lo
.LBB68_15:
	s_and_not1_saveexec_b32 s0, s1
	s_cbranch_execz .LBB68_17
; %bb.16:
	v_cvt_f32_u32_e32 v3, s2
	s_sub_co_i32 s1, 0, s2
	s_delay_alu instid0(VALU_DEP_1) | instskip(SKIP_1) | instid1(TRANS32_DEP_1)
	v_rcp_iflag_f32_e32 v3, v3
	v_nop
	v_mul_f32_e32 v3, 0x4f7ffffe, v3
	s_delay_alu instid0(VALU_DEP_1) | instskip(NEXT) | instid1(VALU_DEP_1)
	v_cvt_u32_f32_e32 v3, v3
	v_mul_lo_u32 v4, s1, v3
	s_delay_alu instid0(VALU_DEP_1) | instskip(NEXT) | instid1(VALU_DEP_1)
	v_mul_hi_u32 v4, v3, v4
	v_add_nc_u32_e32 v3, v3, v4
	s_delay_alu instid0(VALU_DEP_1) | instskip(NEXT) | instid1(VALU_DEP_1)
	v_mul_hi_u32 v3, v2, v3
	v_mul_lo_u32 v4, v3, s2
	s_delay_alu instid0(VALU_DEP_1) | instskip(NEXT) | instid1(VALU_DEP_1)
	v_dual_add_nc_u32 v5, 1, v3 :: v_dual_sub_nc_u32 v4, v2, v4
	v_subrev_nc_u32_e32 v6, s2, v4
	v_cmp_le_u32_e32 vcc_lo, s2, v4
	s_delay_alu instid0(VALU_DEP_2) | instskip(NEXT) | instid1(VALU_DEP_1)
	v_dual_cndmask_b32 v4, v4, v6 :: v_dual_cndmask_b32 v3, v3, v5
	v_cmp_le_u32_e32 vcc_lo, s2, v4
	s_delay_alu instid0(VALU_DEP_2) | instskip(NEXT) | instid1(VALU_DEP_1)
	v_add_nc_u32_e32 v5, 1, v3
	v_cndmask_b32_e32 v6, v3, v5, vcc_lo
.LBB68_17:
	s_or_b32 exec_lo, exec_lo, s0
	s_delay_alu instid0(VALU_DEP_1) | instskip(SKIP_1) | instid1(VALU_DEP_2)
	v_mul_lo_u32 v3, v6, s2
	v_add_nc_u64_e32 v[0:1], s[4:5], v[0:1]
	v_sub_nc_u32_e32 v2, v2, v3
	v_xor_b32_e32 v3, 0x80, v8
	s_delay_alu instid0(VALU_DEP_2) | instskip(NEXT) | instid1(VALU_DEP_1)
	v_bitop3_b32 v2, v2, 1, v6 bitop3:0x48
	v_cmp_eq_u32_e32 vcc_lo, 0, v2
	s_delay_alu instid0(VALU_DEP_3)
	v_cndmask_b32_e32 v2, v8, v3, vcc_lo
	global_store_b8 v[0:1], v2, off
.LBB68_18:
	s_endpgm
	.section	.rodata,"a",@progbits
	.p2align	6, 0x0
	.amdhsa_kernel _Z11fill_kernelI12hipblaslt_f8Z21hipblaslt_init_deviceIS0_Ev8ABC_dims24hipblaslt_initializationbPT_mmmmmEUlmE1_EvS5_mmT0_
		.amdhsa_group_segment_fixed_size 0
		.amdhsa_private_segment_fixed_size 0
		.amdhsa_kernarg_size 296
		.amdhsa_user_sgpr_count 2
		.amdhsa_user_sgpr_dispatch_ptr 0
		.amdhsa_user_sgpr_queue_ptr 0
		.amdhsa_user_sgpr_kernarg_segment_ptr 1
		.amdhsa_user_sgpr_dispatch_id 0
		.amdhsa_user_sgpr_kernarg_preload_length 0
		.amdhsa_user_sgpr_kernarg_preload_offset 0
		.amdhsa_user_sgpr_private_segment_size 0
		.amdhsa_wavefront_size32 1
		.amdhsa_uses_dynamic_stack 0
		.amdhsa_enable_private_segment 0
		.amdhsa_system_sgpr_workgroup_id_x 1
		.amdhsa_system_sgpr_workgroup_id_y 0
		.amdhsa_system_sgpr_workgroup_id_z 0
		.amdhsa_system_sgpr_workgroup_info 0
		.amdhsa_system_vgpr_workitem_id 0
		.amdhsa_next_free_vgpr 16
		.amdhsa_next_free_sgpr 20
		.amdhsa_named_barrier_count 0
		.amdhsa_reserve_vcc 1
		.amdhsa_float_round_mode_32 0
		.amdhsa_float_round_mode_16_64 0
		.amdhsa_float_denorm_mode_32 3
		.amdhsa_float_denorm_mode_16_64 3
		.amdhsa_fp16_overflow 0
		.amdhsa_memory_ordered 1
		.amdhsa_forward_progress 1
		.amdhsa_inst_pref_size 18
		.amdhsa_round_robin_scheduling 0
		.amdhsa_exception_fp_ieee_invalid_op 0
		.amdhsa_exception_fp_denorm_src 0
		.amdhsa_exception_fp_ieee_div_zero 0
		.amdhsa_exception_fp_ieee_overflow 0
		.amdhsa_exception_fp_ieee_underflow 0
		.amdhsa_exception_fp_ieee_inexact 0
		.amdhsa_exception_int_div_zero 0
	.end_amdhsa_kernel
	.section	.text._Z11fill_kernelI12hipblaslt_f8Z21hipblaslt_init_deviceIS0_Ev8ABC_dims24hipblaslt_initializationbPT_mmmmmEUlmE1_EvS5_mmT0_,"axG",@progbits,_Z11fill_kernelI12hipblaslt_f8Z21hipblaslt_init_deviceIS0_Ev8ABC_dims24hipblaslt_initializationbPT_mmmmmEUlmE1_EvS5_mmT0_,comdat
.Lfunc_end68:
	.size	_Z11fill_kernelI12hipblaslt_f8Z21hipblaslt_init_deviceIS0_Ev8ABC_dims24hipblaslt_initializationbPT_mmmmmEUlmE1_EvS5_mmT0_, .Lfunc_end68-_Z11fill_kernelI12hipblaslt_f8Z21hipblaslt_init_deviceIS0_Ev8ABC_dims24hipblaslt_initializationbPT_mmmmmEUlmE1_EvS5_mmT0_
                                        ; -- End function
	.set _Z11fill_kernelI12hipblaslt_f8Z21hipblaslt_init_deviceIS0_Ev8ABC_dims24hipblaslt_initializationbPT_mmmmmEUlmE1_EvS5_mmT0_.num_vgpr, 16
	.set _Z11fill_kernelI12hipblaslt_f8Z21hipblaslt_init_deviceIS0_Ev8ABC_dims24hipblaslt_initializationbPT_mmmmmEUlmE1_EvS5_mmT0_.num_agpr, 0
	.set _Z11fill_kernelI12hipblaslt_f8Z21hipblaslt_init_deviceIS0_Ev8ABC_dims24hipblaslt_initializationbPT_mmmmmEUlmE1_EvS5_mmT0_.numbered_sgpr, 20
	.set _Z11fill_kernelI12hipblaslt_f8Z21hipblaslt_init_deviceIS0_Ev8ABC_dims24hipblaslt_initializationbPT_mmmmmEUlmE1_EvS5_mmT0_.num_named_barrier, 0
	.set _Z11fill_kernelI12hipblaslt_f8Z21hipblaslt_init_deviceIS0_Ev8ABC_dims24hipblaslt_initializationbPT_mmmmmEUlmE1_EvS5_mmT0_.private_seg_size, 0
	.set _Z11fill_kernelI12hipblaslt_f8Z21hipblaslt_init_deviceIS0_Ev8ABC_dims24hipblaslt_initializationbPT_mmmmmEUlmE1_EvS5_mmT0_.uses_vcc, 1
	.set _Z11fill_kernelI12hipblaslt_f8Z21hipblaslt_init_deviceIS0_Ev8ABC_dims24hipblaslt_initializationbPT_mmmmmEUlmE1_EvS5_mmT0_.uses_flat_scratch, 0
	.set _Z11fill_kernelI12hipblaslt_f8Z21hipblaslt_init_deviceIS0_Ev8ABC_dims24hipblaslt_initializationbPT_mmmmmEUlmE1_EvS5_mmT0_.has_dyn_sized_stack, 0
	.set _Z11fill_kernelI12hipblaslt_f8Z21hipblaslt_init_deviceIS0_Ev8ABC_dims24hipblaslt_initializationbPT_mmmmmEUlmE1_EvS5_mmT0_.has_recursion, 0
	.set _Z11fill_kernelI12hipblaslt_f8Z21hipblaslt_init_deviceIS0_Ev8ABC_dims24hipblaslt_initializationbPT_mmmmmEUlmE1_EvS5_mmT0_.has_indirect_call, 0
	.section	.AMDGPU.csdata,"",@progbits
; Kernel info:
; codeLenInByte = 2280
; TotalNumSgprs: 22
; NumVgprs: 16
; ScratchSize: 0
; MemoryBound: 0
; FloatMode: 240
; IeeeMode: 1
; LDSByteSize: 0 bytes/workgroup (compile time only)
; SGPRBlocks: 0
; VGPRBlocks: 0
; NumSGPRsForWavesPerEU: 22
; NumVGPRsForWavesPerEU: 16
; NamedBarCnt: 0
; Occupancy: 16
; WaveLimiterHint : 0
; COMPUTE_PGM_RSRC2:SCRATCH_EN: 0
; COMPUTE_PGM_RSRC2:USER_SGPR: 2
; COMPUTE_PGM_RSRC2:TRAP_HANDLER: 0
; COMPUTE_PGM_RSRC2:TGID_X_EN: 1
; COMPUTE_PGM_RSRC2:TGID_Y_EN: 0
; COMPUTE_PGM_RSRC2:TGID_Z_EN: 0
; COMPUTE_PGM_RSRC2:TIDIG_COMP_CNT: 0
	.section	.text._Z11fill_kernelI12hipblaslt_f8Z21hipblaslt_init_deviceIS0_Ev8ABC_dims24hipblaslt_initializationbPT_mmmmmEUlmE2_EvS5_mmT0_,"axG",@progbits,_Z11fill_kernelI12hipblaslt_f8Z21hipblaslt_init_deviceIS0_Ev8ABC_dims24hipblaslt_initializationbPT_mmmmmEUlmE2_EvS5_mmT0_,comdat
	.protected	_Z11fill_kernelI12hipblaslt_f8Z21hipblaslt_init_deviceIS0_Ev8ABC_dims24hipblaslt_initializationbPT_mmmmmEUlmE2_EvS5_mmT0_ ; -- Begin function _Z11fill_kernelI12hipblaslt_f8Z21hipblaslt_init_deviceIS0_Ev8ABC_dims24hipblaslt_initializationbPT_mmmmmEUlmE2_EvS5_mmT0_
	.globl	_Z11fill_kernelI12hipblaslt_f8Z21hipblaslt_init_deviceIS0_Ev8ABC_dims24hipblaslt_initializationbPT_mmmmmEUlmE2_EvS5_mmT0_
	.p2align	8
	.type	_Z11fill_kernelI12hipblaslt_f8Z21hipblaslt_init_deviceIS0_Ev8ABC_dims24hipblaslt_initializationbPT_mmmmmEUlmE2_EvS5_mmT0_,@function
_Z11fill_kernelI12hipblaslt_f8Z21hipblaslt_init_deviceIS0_Ev8ABC_dims24hipblaslt_initializationbPT_mmmmmEUlmE2_EvS5_mmT0_: ; @_Z11fill_kernelI12hipblaslt_f8Z21hipblaslt_init_deviceIS0_Ev8ABC_dims24hipblaslt_initializationbPT_mmmmmEUlmE2_EvS5_mmT0_
; %bb.0:
	s_clause 0x1
	s_load_b32 s2, s[0:1], 0x44
	s_load_b128 s[12:15], s[0:1], 0x0
	s_bfe_u32 s3, ttmp6, 0x4000c
	s_and_b32 s4, ttmp6, 15
	s_add_co_i32 s3, s3, 1
	s_getreg_b32 s5, hwreg(HW_REG_IB_STS2, 6, 4)
	s_mul_i32 s3, ttmp9, s3
	v_mov_b32_e32 v3, 0
	s_add_co_i32 s4, s4, s3
	s_wait_kmcnt 0x0
	s_and_b32 s2, s2, 0xffff
	s_cmp_eq_u32 s5, 0
	s_cselect_b32 s3, ttmp9, s4
	s_delay_alu instid0(SALU_CYCLE_1) | instskip(SKIP_1) | instid1(VALU_DEP_1)
	v_mad_u32 v2, s3, s2, v0
	s_mov_b32 s2, exec_lo
	v_cmpx_gt_u64_e64 s[14:15], v[2:3]
	s_cbranch_execz .LBB69_30
; %bb.1:
	s_clause 0x1
	s_load_b64 s[2:3], s[0:1], 0x10
	s_load_b256 s[4:11], s[0:1], 0x18
	s_wait_xcnt 0x0
	s_mov_b32 s0, exec_lo
	v_mov_b32_e32 v4, v3
	s_wait_kmcnt 0x0
	v_add_nc_u64_e32 v[0:1], s[2:3], v[2:3]
                                        ; implicit-def: $vgpr2_vgpr3
	s_delay_alu instid0(VALU_DEP_1) | instskip(NEXT) | instid1(VALU_DEP_1)
	v_or_b32_e32 v5, s9, v1
	v_cmpx_ne_u64_e32 0, v[4:5]
	s_xor_b32 s1, exec_lo, s0
	s_cbranch_execz .LBB69_3
; %bb.2:
	s_cvt_f32_u32 s0, s8
	s_cvt_f32_u32 s2, s9
	s_sub_nc_u64 s[14:15], 0, s[8:9]
	s_mov_b32 s19, 0
	v_dual_mov_b32 v3, 0 :: v_dual_mov_b32 v2, v0
	s_fmamk_f32 s0, s2, 0x4f800000, s0
	s_delay_alu instid0(SALU_CYCLE_3) | instskip(NEXT) | instid1(TRANS32_DEP_1)
	v_s_rcp_f32 s0, s0
	s_mul_f32 s0, s0, 0x5f7ffffc
	s_delay_alu instid0(SALU_CYCLE_3) | instskip(NEXT) | instid1(SALU_CYCLE_3)
	s_mul_f32 s2, s0, 0x2f800000
	s_trunc_f32 s2, s2
	s_delay_alu instid0(SALU_CYCLE_3) | instskip(SKIP_1) | instid1(SALU_CYCLE_2)
	s_fmamk_f32 s0, s2, 0xcf800000, s0
	s_cvt_u32_f32 s3, s2
	s_cvt_u32_f32 s2, s0
	s_delay_alu instid0(SALU_CYCLE_3) | instskip(NEXT) | instid1(SALU_CYCLE_1)
	s_mul_u64 s[16:17], s[14:15], s[2:3]
	s_mul_hi_u32 s21, s2, s17
	s_mul_i32 s20, s2, s17
	s_mul_hi_u32 s18, s2, s16
	s_mul_i32 s22, s3, s16
	s_add_nc_u64 s[20:21], s[18:19], s[20:21]
	s_mul_hi_u32 s0, s3, s16
	s_mul_hi_u32 s23, s3, s17
	s_mul_i32 s16, s3, s17
	s_add_co_u32 s17, s20, s22
	s_add_co_ci_u32 s18, s21, s0
	s_add_co_ci_u32 s17, s23, 0
	s_delay_alu instid0(SALU_CYCLE_1) | instskip(NEXT) | instid1(SALU_CYCLE_1)
	s_add_nc_u64 s[16:17], s[18:19], s[16:17]
	s_add_co_u32 s2, s2, s16
	s_cselect_b32 s0, -1, 0
	s_delay_alu instid0(SALU_CYCLE_1) | instskip(SKIP_1) | instid1(SALU_CYCLE_1)
	s_cmp_lg_u32 s0, 0
	s_add_co_ci_u32 s3, s3, s17
	s_mul_u64 s[14:15], s[14:15], s[2:3]
	s_delay_alu instid0(SALU_CYCLE_1)
	s_mul_hi_u32 s17, s2, s15
	s_mul_i32 s16, s2, s15
	s_mul_hi_u32 s18, s2, s14
	s_mul_i32 s20, s3, s14
	s_add_nc_u64 s[16:17], s[18:19], s[16:17]
	s_mul_hi_u32 s0, s3, s14
	s_mul_hi_u32 s21, s3, s15
	s_mul_i32 s14, s3, s15
	s_add_co_u32 s15, s16, s20
	s_add_co_ci_u32 s18, s17, s0
	s_add_co_ci_u32 s15, s21, 0
	s_delay_alu instid0(SALU_CYCLE_1) | instskip(NEXT) | instid1(SALU_CYCLE_1)
	s_add_nc_u64 s[14:15], s[18:19], s[14:15]
	s_add_co_u32 s0, s2, s14
	s_cselect_b32 s2, -1, 0
	s_delay_alu instid0(SALU_CYCLE_1)
	s_cmp_lg_u32 s2, 0
	s_add_co_ci_u32 s18, s3, s15
	s_mov_b64 s[2:3], 0xffffffff
	v_mul_u64_e32 v[4:5], s[18:19], v[2:3]
	v_mul_hi_u32 v2, v0, s0
	s_and_b64 s[2:3], s[0:1], s[2:3]
	s_delay_alu instid0(VALU_DEP_1) | instskip(SKIP_1) | instid1(VALU_DEP_1)
	v_add_nc_u64_e32 v[4:5], v[2:3], v[4:5]
	v_mov_b32_e32 v2, v1
	v_mul_u64_e32 v[6:7], s[2:3], v[2:3]
	v_mul_u64_e32 v[8:9], s[18:19], v[2:3]
	s_delay_alu instid0(VALU_DEP_2) | instskip(NEXT) | instid1(VALU_DEP_3)
	v_add_co_u32 v2, vcc_lo, v4, v6
	v_add_co_ci_u32_e32 v2, vcc_lo, v5, v7, vcc_lo
	s_delay_alu instid0(VALU_DEP_3) | instskip(NEXT) | instid1(VALU_DEP_1)
	v_add_co_ci_u32_e32 v9, vcc_lo, 0, v9, vcc_lo
	v_add_nc_u64_e32 v[2:3], v[2:3], v[8:9]
	s_delay_alu instid0(VALU_DEP_1) | instskip(NEXT) | instid1(VALU_DEP_1)
	v_mul_u64_e32 v[4:5], s[8:9], v[2:3]
	v_sub_nc_u32_e32 v6, v1, v5
	s_delay_alu instid0(VALU_DEP_2) | instskip(NEXT) | instid1(VALU_DEP_1)
	v_sub_co_u32 v4, vcc_lo, v0, v4
	v_sub_co_ci_u32_e64 v11, null, v1, v5, vcc_lo
	s_delay_alu instid0(VALU_DEP_3) | instskip(NEXT) | instid1(VALU_DEP_3)
	v_subrev_co_ci_u32_e64 v6, null, s9, v6, vcc_lo
	v_sub_co_u32 v8, s0, v4, s8
	v_cmp_le_u32_e32 vcc_lo, s8, v4
	s_delay_alu instid0(VALU_DEP_3) | instskip(NEXT) | instid1(VALU_DEP_3)
	v_subrev_co_ci_u32_e64 v9, null, 0, v6, s0
	v_cmp_le_u32_e64 s0, s8, v8
	v_add_nc_u64_e32 v[6:7], 2, v[2:3]
	v_cndmask_b32_e64 v12, 0, -1, vcc_lo
	s_delay_alu instid0(VALU_DEP_4) | instskip(SKIP_3) | instid1(VALU_DEP_1)
	v_cmp_eq_u32_e32 vcc_lo, s9, v9
	v_add_nc_u64_e32 v[4:5], 1, v[2:3]
	v_cndmask_b32_e64 v8, 0, -1, s0
	v_cmp_le_u32_e64 s0, s9, v9
	v_cndmask_b32_e64 v10, 0, -1, s0
	v_cmp_eq_u32_e64 s0, s9, v11
	s_delay_alu instid0(VALU_DEP_2) | instskip(SKIP_2) | instid1(VALU_DEP_3)
	v_cndmask_b32_e32 v8, v10, v8, vcc_lo
	v_cmp_le_u32_e32 vcc_lo, s9, v11
	v_cndmask_b32_e64 v9, 0, -1, vcc_lo
	v_cmp_ne_u32_e32 vcc_lo, 0, v8
	s_delay_alu instid0(VALU_DEP_2) | instskip(SKIP_1) | instid1(VALU_DEP_2)
	v_dual_cndmask_b32 v8, v9, v12, s0 :: v_dual_cndmask_b32 v4, v4, v6, vcc_lo
	v_cndmask_b32_e32 v5, v5, v7, vcc_lo
	v_cmp_ne_u32_e32 vcc_lo, 0, v8
	s_delay_alu instid0(VALU_DEP_2)
	v_dual_cndmask_b32 v3, v3, v5 :: v_dual_cndmask_b32 v2, v2, v4
.LBB69_3:
	s_and_not1_saveexec_b32 s0, s1
	s_cbranch_execz .LBB69_5
; %bb.4:
	v_cvt_f32_u32_e32 v2, s8
	s_sub_co_i32 s1, 0, s8
	s_delay_alu instid0(VALU_DEP_1) | instskip(SKIP_1) | instid1(TRANS32_DEP_1)
	v_rcp_iflag_f32_e32 v2, v2
	v_nop
	v_mul_f32_e32 v2, 0x4f7ffffe, v2
	s_delay_alu instid0(VALU_DEP_1) | instskip(NEXT) | instid1(VALU_DEP_1)
	v_cvt_u32_f32_e32 v2, v2
	v_mul_lo_u32 v3, s1, v2
	s_delay_alu instid0(VALU_DEP_1) | instskip(NEXT) | instid1(VALU_DEP_1)
	v_mul_hi_u32 v3, v2, v3
	v_add_nc_u32_e32 v2, v2, v3
	s_delay_alu instid0(VALU_DEP_1) | instskip(NEXT) | instid1(VALU_DEP_1)
	v_mul_hi_u32 v2, v0, v2
	v_mul_lo_u32 v3, v2, s8
	s_delay_alu instid0(VALU_DEP_1) | instskip(NEXT) | instid1(VALU_DEP_1)
	v_dual_add_nc_u32 v4, 1, v2 :: v_dual_sub_nc_u32 v3, v0, v3
	v_subrev_nc_u32_e32 v5, s8, v3
	v_cmp_le_u32_e32 vcc_lo, s8, v3
	s_delay_alu instid0(VALU_DEP_2) | instskip(NEXT) | instid1(VALU_DEP_1)
	v_dual_cndmask_b32 v3, v3, v5 :: v_dual_cndmask_b32 v2, v2, v4
	v_cmp_le_u32_e32 vcc_lo, s8, v3
	s_delay_alu instid0(VALU_DEP_2) | instskip(NEXT) | instid1(VALU_DEP_1)
	v_dual_mov_b32 v3, 0 :: v_dual_add_nc_u32 v4, 1, v2
	v_cndmask_b32_e32 v2, v2, v4, vcc_lo
.LBB69_5:
	s_or_b32 exec_lo, exec_lo, s0
	s_delay_alu instid0(VALU_DEP_1) | instskip(SKIP_2) | instid1(VALU_DEP_2)
	v_mul_u64_e32 v[4:5], s[8:9], v[2:3]
                                        ; implicit-def: $vgpr8_vgpr9
	s_mov_b32 s0, exec_lo
	v_mov_b32_e32 v6, 0
	v_sub_nc_u64_e32 v[4:5], v[0:1], v[4:5]
	s_delay_alu instid0(VALU_DEP_1) | instskip(NEXT) | instid1(VALU_DEP_1)
	v_or_b32_e32 v7, s11, v5
	v_cmpx_ne_u64_e32 0, v[6:7]
	s_xor_b32 s1, exec_lo, s0
	s_cbranch_execz .LBB69_7
; %bb.6:
	s_cvt_f32_u32 s0, s10
	s_cvt_f32_u32 s2, s11
	s_sub_nc_u64 s[8:9], 0, s[10:11]
	s_mov_b32 s17, 0
	v_dual_mov_b32 v8, v4 :: v_dual_mov_b32 v9, v6
	s_fmamk_f32 s0, s2, 0x4f800000, s0
	v_dual_mov_b32 v10, v5 :: v_dual_mov_b32 v11, v6
	v_dual_mov_b32 v15, v6 :: v_dual_mov_b32 v7, v6
	s_delay_alu instid0(SALU_CYCLE_1) | instskip(NEXT) | instid1(TRANS32_DEP_1)
	v_s_rcp_f32 s0, s0
	s_mul_f32 s0, s0, 0x5f7ffffc
	s_delay_alu instid0(SALU_CYCLE_3) | instskip(NEXT) | instid1(SALU_CYCLE_3)
	s_mul_f32 s2, s0, 0x2f800000
	s_trunc_f32 s2, s2
	s_delay_alu instid0(SALU_CYCLE_3) | instskip(SKIP_1) | instid1(SALU_CYCLE_2)
	s_fmamk_f32 s0, s2, 0xcf800000, s0
	s_cvt_u32_f32 s3, s2
	s_cvt_u32_f32 s2, s0
	s_delay_alu instid0(SALU_CYCLE_3) | instskip(NEXT) | instid1(SALU_CYCLE_1)
	s_mul_u64 s[14:15], s[8:9], s[2:3]
	s_mul_hi_u32 s19, s2, s15
	s_mul_i32 s18, s2, s15
	s_mul_hi_u32 s16, s2, s14
	s_mul_i32 s20, s3, s14
	s_add_nc_u64 s[18:19], s[16:17], s[18:19]
	s_mul_hi_u32 s0, s3, s14
	s_mul_hi_u32 s21, s3, s15
	s_mul_i32 s14, s3, s15
	s_add_co_u32 s15, s18, s20
	s_add_co_ci_u32 s16, s19, s0
	s_add_co_ci_u32 s15, s21, 0
	s_delay_alu instid0(SALU_CYCLE_1) | instskip(NEXT) | instid1(SALU_CYCLE_1)
	s_add_nc_u64 s[14:15], s[16:17], s[14:15]
	s_add_co_u32 s2, s2, s14
	s_cselect_b32 s0, -1, 0
	s_delay_alu instid0(SALU_CYCLE_1) | instskip(SKIP_1) | instid1(SALU_CYCLE_1)
	s_cmp_lg_u32 s0, 0
	s_add_co_ci_u32 s3, s3, s15
	s_mul_u64 s[8:9], s[8:9], s[2:3]
	s_delay_alu instid0(SALU_CYCLE_1)
	s_mul_hi_u32 s15, s2, s9
	s_mul_i32 s14, s2, s9
	s_mul_hi_u32 s16, s2, s8
	s_mul_i32 s18, s3, s8
	s_add_nc_u64 s[14:15], s[16:17], s[14:15]
	s_mul_hi_u32 s0, s3, s8
	s_mul_hi_u32 s19, s3, s9
	s_mul_i32 s8, s3, s9
	s_add_co_u32 s9, s14, s18
	s_add_co_ci_u32 s16, s15, s0
	s_add_co_ci_u32 s9, s19, 0
	s_delay_alu instid0(SALU_CYCLE_1) | instskip(NEXT) | instid1(SALU_CYCLE_1)
	s_add_nc_u64 s[8:9], s[16:17], s[8:9]
	s_add_co_u32 s0, s2, s8
	s_cselect_b32 s2, -1, 0
	v_nop
	v_mul_hi_u32 v14, v4, s0
	s_cmp_lg_u32 s2, 0
	s_add_co_ci_u32 s16, s3, s9
	s_mov_b64 s[2:3], 0xffffffff
	v_mul_u64_e32 v[8:9], s[16:17], v[8:9]
	s_and_b64 s[2:3], s[0:1], s[2:3]
	s_delay_alu instid0(SALU_CYCLE_1) | instskip(SKIP_1) | instid1(VALU_DEP_3)
	v_mul_u64_e32 v[12:13], s[2:3], v[10:11]
	v_mul_u64_e32 v[10:11], s[16:17], v[10:11]
	v_add_nc_u64_e32 v[8:9], v[14:15], v[8:9]
	s_delay_alu instid0(VALU_DEP_1) | instskip(NEXT) | instid1(VALU_DEP_2)
	v_add_co_u32 v6, vcc_lo, v8, v12
	v_add_co_ci_u32_e32 v6, vcc_lo, v9, v13, vcc_lo
	s_delay_alu instid0(VALU_DEP_4) | instskip(NEXT) | instid1(VALU_DEP_1)
	v_add_co_ci_u32_e32 v11, vcc_lo, 0, v11, vcc_lo
	v_add_nc_u64_e32 v[6:7], v[6:7], v[10:11]
	s_delay_alu instid0(VALU_DEP_1) | instskip(NEXT) | instid1(VALU_DEP_1)
	v_mul_u64_e32 v[8:9], s[10:11], v[6:7]
	v_sub_nc_u32_e32 v10, v5, v9
	s_delay_alu instid0(VALU_DEP_2) | instskip(NEXT) | instid1(VALU_DEP_1)
	v_sub_co_u32 v8, vcc_lo, v4, v8
	v_sub_co_ci_u32_e64 v15, null, v5, v9, vcc_lo
	s_delay_alu instid0(VALU_DEP_3) | instskip(NEXT) | instid1(VALU_DEP_3)
	v_subrev_co_ci_u32_e64 v10, null, s11, v10, vcc_lo
	v_sub_co_u32 v12, s0, v8, s10
	v_cmp_le_u32_e32 vcc_lo, s10, v8
	s_delay_alu instid0(VALU_DEP_3) | instskip(NEXT) | instid1(VALU_DEP_3)
	v_subrev_co_ci_u32_e64 v13, null, 0, v10, s0
	v_cmp_le_u32_e64 s0, s10, v12
	v_add_nc_u64_e32 v[10:11], 2, v[6:7]
	v_cndmask_b32_e64 v16, 0, -1, vcc_lo
	s_delay_alu instid0(VALU_DEP_4) | instskip(SKIP_3) | instid1(VALU_DEP_1)
	v_cmp_eq_u32_e32 vcc_lo, s11, v13
	v_add_nc_u64_e32 v[8:9], 1, v[6:7]
	v_cndmask_b32_e64 v12, 0, -1, s0
	v_cmp_le_u32_e64 s0, s11, v13
	v_cndmask_b32_e64 v14, 0, -1, s0
	v_cmp_eq_u32_e64 s0, s11, v15
	s_delay_alu instid0(VALU_DEP_2) | instskip(SKIP_2) | instid1(VALU_DEP_3)
	v_cndmask_b32_e32 v12, v14, v12, vcc_lo
	v_cmp_le_u32_e32 vcc_lo, s11, v15
	v_cndmask_b32_e64 v13, 0, -1, vcc_lo
	v_cmp_ne_u32_e32 vcc_lo, 0, v12
	s_delay_alu instid0(VALU_DEP_2) | instskip(SKIP_1) | instid1(VALU_DEP_2)
	v_dual_cndmask_b32 v12, v13, v16, s0 :: v_dual_cndmask_b32 v8, v8, v10, vcc_lo
	v_cndmask_b32_e32 v9, v9, v11, vcc_lo
	v_cmp_ne_u32_e32 vcc_lo, 0, v12
	s_delay_alu instid0(VALU_DEP_2)
	v_dual_cndmask_b32 v8, v6, v8 :: v_dual_cndmask_b32 v9, v7, v9
.LBB69_7:
	s_and_not1_saveexec_b32 s0, s1
	s_cbranch_execz .LBB69_9
; %bb.8:
	v_cvt_f32_u32_e32 v6, s10
	s_sub_co_i32 s1, 0, s10
	s_delay_alu instid0(VALU_DEP_1) | instskip(SKIP_1) | instid1(TRANS32_DEP_1)
	v_rcp_iflag_f32_e32 v6, v6
	v_nop
	v_mul_f32_e32 v6, 0x4f7ffffe, v6
	s_delay_alu instid0(VALU_DEP_1) | instskip(NEXT) | instid1(VALU_DEP_1)
	v_cvt_u32_f32_e32 v6, v6
	v_mul_lo_u32 v7, s1, v6
	s_delay_alu instid0(VALU_DEP_1) | instskip(NEXT) | instid1(VALU_DEP_1)
	v_mul_hi_u32 v7, v6, v7
	v_add_nc_u32_e32 v6, v6, v7
	s_delay_alu instid0(VALU_DEP_1) | instskip(NEXT) | instid1(VALU_DEP_1)
	v_mul_hi_u32 v6, v4, v6
	v_mul_lo_u32 v7, v6, s10
	s_delay_alu instid0(VALU_DEP_1) | instskip(NEXT) | instid1(VALU_DEP_1)
	v_dual_add_nc_u32 v8, 1, v6 :: v_dual_sub_nc_u32 v7, v4, v7
	v_subrev_nc_u32_e32 v9, s10, v7
	v_cmp_le_u32_e32 vcc_lo, s10, v7
	s_delay_alu instid0(VALU_DEP_2) | instskip(NEXT) | instid1(VALU_DEP_4)
	v_dual_cndmask_b32 v7, v7, v9, vcc_lo :: v_dual_mov_b32 v9, 0
	v_cndmask_b32_e32 v6, v6, v8, vcc_lo
	s_delay_alu instid0(VALU_DEP_2) | instskip(NEXT) | instid1(VALU_DEP_2)
	v_cmp_le_u32_e32 vcc_lo, s10, v7
	v_add_nc_u32_e32 v8, 1, v6
	s_delay_alu instid0(VALU_DEP_1)
	v_cndmask_b32_e32 v8, v6, v8, vcc_lo
.LBB69_9:
	s_or_b32 exec_lo, exec_lo, s0
	s_delay_alu instid0(VALU_DEP_1) | instskip(SKIP_1) | instid1(VALU_DEP_1)
	v_mul_u64_e32 v[6:7], s[10:11], v[8:9]
	v_mad_nc_u64_u32 v[8:9], v2, s6, v[8:9]
	v_mad_u32 v3, v3, s6, v9
	s_delay_alu instid0(VALU_DEP_1) | instskip(NEXT) | instid1(VALU_DEP_4)
	v_mad_u32 v2, v2, s7, v3
	v_sub_nc_u64_e32 v[4:5], v[4:5], v[6:7]
	s_delay_alu instid0(VALU_DEP_1) | instskip(NEXT) | instid1(VALU_DEP_1)
	v_mad_nc_u64_u32 v[4:5], v8, s4, v[4:5]
	v_mad_u32 v2, v2, s4, v5
	s_delay_alu instid0(VALU_DEP_2) | instskip(NEXT) | instid1(VALU_DEP_2)
	v_cvt_f64_u32_e32 v[6:7], v4
	v_mad_u32 v5, v8, s5, v2
                                        ; implicit-def: $vgpr8
	s_delay_alu instid0(VALU_DEP_1) | instskip(SKIP_1) | instid1(VALU_DEP_2)
	v_cvt_f64_u32_e32 v[2:3], v5
	v_cmp_lt_u64_e32 vcc_lo, 0x3fffffff, v[4:5]
                                        ; implicit-def: $vgpr4_vgpr5
	v_ldexp_f64 v[2:3], v[2:3], 32
	s_delay_alu instid0(VALU_DEP_1) | instskip(SKIP_1) | instid1(SALU_CYCLE_1)
	v_add_f64_e32 v[2:3], v[2:3], v[6:7]
                                        ; implicit-def: $vgpr6_vgpr7
	s_and_saveexec_b32 s0, vcc_lo
	s_xor_b32 s0, exec_lo, s0
	s_cbranch_execz .LBB69_11
; %bb.10:
	s_delay_alu instid0(VALU_DEP_1) | instskip(SKIP_3) | instid1(VALU_DEP_3)
	v_trig_preop_f64 v[4:5], v[2:3], 0
	v_trig_preop_f64 v[6:7], v[2:3], 1
	;; [unrolled: 1-line block ×3, first 2 shown]
	s_mov_b64 s[2:3], 0x3ff921fb54442d18
	v_dual_mul_f64 v[8:9], v[4:5], v[2:3] :: v_dual_mov_b32 v24, 0
	s_delay_alu instid0(VALU_DEP_3) | instskip(NEXT) | instid1(VALU_DEP_3)
	v_mul_f64_e32 v[10:11], v[6:7], v[2:3]
	v_mul_f64_e32 v[22:23], v[16:17], v[2:3]
	s_delay_alu instid0(VALU_DEP_3) | instskip(NEXT) | instid1(VALU_DEP_3)
	v_fma_f64 v[4:5], v[4:5], v[2:3], -v[8:9]
	v_fma_f64 v[6:7], v[6:7], v[2:3], -v[10:11]
	s_delay_alu instid0(VALU_DEP_3) | instskip(NEXT) | instid1(VALU_DEP_3)
	v_fma_f64 v[16:17], v[16:17], v[2:3], -v[22:23]
	v_add_f64_e32 v[12:13], v[10:11], v[4:5]
	s_delay_alu instid0(VALU_DEP_1) | instskip(SKIP_1) | instid1(VALU_DEP_2)
	v_add_f64_e64 v[14:15], v[12:13], -v[10:11]
	v_add_f64_e32 v[20:21], v[8:9], v[12:13]
	v_add_f64_e64 v[18:19], v[12:13], -v[14:15]
	v_add_f64_e64 v[4:5], v[4:5], -v[14:15]
	s_delay_alu instid0(VALU_DEP_3) | instskip(NEXT) | instid1(VALU_DEP_3)
	v_ldexp_f64 v[14:15], v[20:21], -2
	v_add_f64_e64 v[10:11], v[10:11], -v[18:19]
	v_add_f64_e32 v[18:19], v[22:23], v[6:7]
	s_delay_alu instid0(VALU_DEP_3) | instskip(NEXT) | instid1(VALU_DEP_3)
	v_cmp_neq_f64_e64 vcc_lo, 0x7ff00000, |v[14:15]|
	v_add_f64_e32 v[4:5], v[4:5], v[10:11]
	v_fract_f64_e32 v[10:11], v[14:15]
	s_delay_alu instid0(VALU_DEP_1) | instskip(NEXT) | instid1(VALU_DEP_1)
	v_ldexp_f64 v[10:11], v[10:11], 2
	v_dual_add_f64 v[8:9], v[20:21], -v[8:9] :: v_dual_cndmask_b32 v10, 0, v10, vcc_lo
	s_delay_alu instid0(VALU_DEP_1) | instskip(SKIP_1) | instid1(VALU_DEP_1)
	v_dual_add_f64 v[8:9], v[12:13], -v[8:9] :: v_dual_cndmask_b32 v11, 0, v11, vcc_lo
	v_add_f64_e32 v[12:13], v[18:19], v[4:5]
	v_add_f64_e32 v[14:15], v[8:9], v[12:13]
	v_add_f64_e64 v[26:27], v[12:13], -v[18:19]
	s_delay_alu instid0(VALU_DEP_2) | instskip(NEXT) | instid1(VALU_DEP_2)
	v_add_f64_e32 v[20:21], v[14:15], v[10:11]
	v_add_f64_e64 v[32:33], v[12:13], -v[26:27]
	v_add_f64_e64 v[4:5], v[4:5], -v[26:27]
	;; [unrolled: 1-line block ×3, first 2 shown]
	s_delay_alu instid0(VALU_DEP_4) | instskip(SKIP_1) | instid1(VALU_DEP_3)
	v_cmp_gt_f64_e32 vcc_lo, 0, v[20:21]
	v_add_f64_e64 v[20:21], v[18:19], -v[22:23]
	v_add_f64_e64 v[8:9], v[12:13], -v[8:9]
	v_cndmask_b32_e64 v25, 0, 0x40100000, vcc_lo
	s_delay_alu instid0(VALU_DEP_3) | instskip(SKIP_2) | instid1(VALU_DEP_4)
	v_add_f64_e64 v[30:31], v[18:19], -v[20:21]
	v_add_f64_e64 v[6:7], v[6:7], -v[20:21]
	;; [unrolled: 1-line block ×3, first 2 shown]
	v_add_f64_e32 v[10:11], v[10:11], v[24:25]
	s_delay_alu instid0(VALU_DEP_4) | instskip(NEXT) | instid1(VALU_DEP_3)
	v_add_f64_e64 v[20:21], v[22:23], -v[30:31]
	v_add_f64_e32 v[4:5], v[4:5], v[18:19]
	s_delay_alu instid0(VALU_DEP_3) | instskip(NEXT) | instid1(VALU_DEP_3)
	v_add_f64_e32 v[28:29], v[14:15], v[10:11]
	v_add_f64_e32 v[6:7], v[6:7], v[20:21]
	s_delay_alu instid0(VALU_DEP_2) | instskip(NEXT) | instid1(VALU_DEP_2)
	v_cvt_i32_f64_e32 v25, v[28:29]
	v_add_f64_e32 v[4:5], v[6:7], v[4:5]
	s_delay_alu instid0(VALU_DEP_2) | instskip(NEXT) | instid1(VALU_DEP_2)
	v_cvt_f64_i32_e32 v[26:27], v25
	v_add_f64_e32 v[4:5], v[16:17], v[4:5]
	s_delay_alu instid0(VALU_DEP_2) | instskip(NEXT) | instid1(VALU_DEP_2)
	v_add_f64_e64 v[10:11], v[10:11], -v[26:27]
	v_add_f64_e32 v[4:5], v[8:9], v[4:5]
	s_delay_alu instid0(VALU_DEP_2) | instskip(NEXT) | instid1(VALU_DEP_1)
	v_add_f64_e32 v[6:7], v[14:15], v[10:11]
	v_add_f64_e64 v[10:11], v[6:7], -v[10:11]
	v_cmp_le_f64_e32 vcc_lo, 0.5, v[6:7]
	s_delay_alu instid0(VALU_DEP_2) | instskip(SKIP_2) | instid1(VALU_DEP_1)
	v_add_f64_e64 v[10:11], v[14:15], -v[10:11]
	v_add_co_ci_u32_e64 v8, null, 0, v25, vcc_lo
	v_cndmask_b32_e64 v25, 0, 0x3ff00000, vcc_lo
	v_add_f64_e64 v[6:7], v[6:7], -v[24:25]
	s_delay_alu instid0(VALU_DEP_4) | instskip(NEXT) | instid1(VALU_DEP_1)
	v_add_f64_e32 v[4:5], v[4:5], v[10:11]
	v_add_f64_e32 v[10:11], v[6:7], v[4:5]
	s_delay_alu instid0(VALU_DEP_1) | instskip(SKIP_1) | instid1(VALU_DEP_2)
	v_mul_f64_e32 v[12:13], 0x3ff921fb54442d18, v[10:11]
	v_add_f64_e64 v[6:7], v[10:11], -v[6:7]
	v_fma_f64 v[14:15], v[10:11], s[2:3], -v[12:13]
	s_delay_alu instid0(VALU_DEP_2) | instskip(NEXT) | instid1(VALU_DEP_2)
	v_add_f64_e64 v[4:5], v[4:5], -v[6:7]
	v_fmamk_f64 v[6:7], v[10:11], 0x3c91a62633145c07, v[14:15]
	s_delay_alu instid0(VALU_DEP_1) | instskip(NEXT) | instid1(VALU_DEP_1)
	v_fmac_f64_e32 v[6:7], 0x3ff921fb54442d18, v[4:5]
	v_add_f64_e32 v[4:5], v[12:13], v[6:7]
	s_delay_alu instid0(VALU_DEP_1) | instskip(NEXT) | instid1(VALU_DEP_1)
	v_add_f64_e64 v[10:11], v[4:5], -v[12:13]
	v_add_f64_e64 v[6:7], v[6:7], -v[10:11]
.LBB69_11:
	s_and_not1_saveexec_b32 s0, s0
	s_cbranch_execz .LBB69_13
; %bb.12:
	s_delay_alu instid0(VALU_DEP_1) | instskip(NEXT) | instid1(VALU_DEP_1)
	v_mul_f64_e32 v[4:5], 0x3fe45f306dc9c883, v[2:3]
	v_rndne_f64_e32 v[8:9], v[4:5]
	s_delay_alu instid0(VALU_DEP_1) | instskip(SKIP_1) | instid1(VALU_DEP_1)
	v_mul_f64_e32 v[4:5], 0xbc91a62633145c00, v[8:9]
	v_fmamk_f64 v[6:7], v[8:9], 0xbff921fb54442d18, v[2:3]
	v_add_f64_e32 v[10:11], v[6:7], v[4:5]
	s_delay_alu instid0(VALU_DEP_1) | instskip(SKIP_1) | instid1(VALU_DEP_1)
	v_add_f64_e64 v[12:13], v[6:7], -v[10:11]
	v_fmamk_f64 v[6:7], v[8:9], 0xbc91a62633145c00, v[6:7]
	v_add_f64_e64 v[10:11], v[10:11], -v[6:7]
	s_delay_alu instid0(VALU_DEP_3) | instskip(SKIP_1) | instid1(VALU_DEP_2)
	v_add_f64_e32 v[12:13], v[12:13], v[4:5]
	v_fmamk_f64 v[4:5], v[8:9], 0x3c91a62633145c00, v[4:5]
	v_add_f64_e32 v[10:11], v[10:11], v[12:13]
	s_delay_alu instid0(VALU_DEP_1) | instskip(NEXT) | instid1(VALU_DEP_1)
	v_add_f64_e64 v[4:5], v[10:11], -v[4:5]
	v_fmamk_f64 v[10:11], v[8:9], 0xb97b839a252049c0, v[4:5]
	v_cvt_i32_f64_e32 v8, v[8:9]
	s_delay_alu instid0(VALU_DEP_2) | instskip(NEXT) | instid1(VALU_DEP_1)
	v_add_f64_e32 v[4:5], v[6:7], v[10:11]
	v_add_f64_e64 v[6:7], v[4:5], -v[6:7]
	s_delay_alu instid0(VALU_DEP_1)
	v_add_f64_e64 v[6:7], v[10:11], -v[6:7]
.LBB69_13:
	s_or_b32 exec_lo, exec_lo, s0
	v_mul_f64_e32 v[10:11], v[4:5], v[4:5]
	s_delay_alu instid0(VALU_DEP_2) | instskip(SKIP_2) | instid1(VALU_DEP_1)
	v_mul_f64_e32 v[18:19], 0.5, v[6:7]
	s_mov_b64 s[0:1], 0x3de5e0b2f9a43bb8
	v_dual_lshlrev_b32 v8, 30, v8 :: v_dual_bitop2_b32 v2, 1, v8 bitop3:0x40
	v_cmp_eq_u32_e32 vcc_lo, 0, v2
	s_delay_alu instid0(VALU_DEP_2)
	v_bitop3_b32 v9, v8, 0x80000000, v3 bitop3:0x48
	v_xor_b32_e32 v3, v8, v3
	v_mul_f64_e32 v[12:13], 0.5, v[10:11]
	v_mul_f64_e64 v[20:21], v[4:5], -v[10:11]
	v_fmaak_f64 v[22:23], s[0:1], v[10:11], 0xbe5ae600b42fdfa7
	s_mov_b64 s[0:1], 0xbda907db46cc5e42
	s_delay_alu instid0(VALU_DEP_3) | instskip(NEXT) | instid1(VALU_DEP_1)
	v_add_f64_e64 v[14:15], -v[12:13], 1.0
	v_add_f64_e64 v[16:17], -v[14:15], 1.0
	s_delay_alu instid0(VALU_DEP_1) | instskip(NEXT) | instid1(VALU_DEP_4)
	v_add_f64_e64 v[12:13], v[16:17], -v[12:13]
	v_fmaak_f64 v[16:17], v[10:11], v[22:23], 0x3ec71de3796cde01
	v_mul_f64_e32 v[22:23], v[10:11], v[10:11]
	s_delay_alu instid0(VALU_DEP_2) | instskip(NEXT) | instid1(VALU_DEP_1)
	v_fmaak_f64 v[16:17], v[10:11], v[16:17], 0xbf2a01a019e83e5c
	v_fmaak_f64 v[16:17], v[10:11], v[16:17], 0x3f81111111110bb3
	s_delay_alu instid0(VALU_DEP_1) | instskip(SKIP_2) | instid1(VALU_DEP_1)
	v_fmac_f64_e32 v[18:19], v[20:21], v[16:17]
	v_fmaak_f64 v[16:17], s[0:1], v[10:11], 0x3e21eeb69037ab78
	s_mov_b64 s[0:1], 0x7ff0000000000000
	v_fmaak_f64 v[16:17], v[10:11], v[16:17], 0xbe927e4fa17f65f6
	v_fma_f64 v[12:13], v[4:5], -v[6:7], v[12:13]
	s_delay_alu instid0(VALU_DEP_2) | instskip(NEXT) | instid1(VALU_DEP_1)
	v_fmaak_f64 v[16:17], v[10:11], v[16:17], 0x3efa01a019f4ec90
	v_fmaak_f64 v[16:17], v[10:11], v[16:17], 0xbf56c16c16c16967
	v_fma_f64 v[6:7], v[10:11], v[18:19], -v[6:7]
	s_delay_alu instid0(VALU_DEP_2) | instskip(NEXT) | instid1(VALU_DEP_1)
	v_fmaak_f64 v[10:11], v[10:11], v[16:17], 0x3fa5555555555555
	v_fmac_f64_e32 v[12:13], v[22:23], v[10:11]
	s_delay_alu instid0(VALU_DEP_3) | instskip(NEXT) | instid1(VALU_DEP_1)
	v_fmamk_f64 v[6:7], v[20:21], 0xbfc5555555555555, v[6:7]
	v_add_f64_e64 v[4:5], v[4:5], -v[6:7]
	s_delay_alu instid0(VALU_DEP_3) | instskip(NEXT) | instid1(VALU_DEP_1)
	v_add_f64_e32 v[6:7], v[14:15], v[12:13]
	v_dual_cndmask_b32 v2, v6, v4, vcc_lo :: v_dual_cndmask_b32 v6, v7, v5, vcc_lo
	v_mov_b32_e32 v4, 0
	s_delay_alu instid0(VALU_DEP_2) | instskip(SKIP_1) | instid1(VALU_DEP_2)
	v_bitop3_b32 v5, v6, 0x7ff00000, v9 bitop3:0x48
	v_bitop3_b32 v3, v6, v3, 0x80000000 bitop3:0x78
	v_cmp_ne_u64_e32 vcc_lo, s[0:1], v[4:5]
	s_delay_alu instid0(VALU_DEP_2) | instskip(SKIP_1) | instid1(SALU_CYCLE_1)
	v_lshrrev_b32_e32 v4, 24, v3
	s_and_saveexec_b32 s0, vcc_lo
	s_xor_b32 s2, exec_lo, s0
	s_cbranch_execz .LBB69_29
; %bb.14:
	v_and_b32_e32 v7, 0x7fffffff, v3
	v_mov_b32_e32 v6, v2
	s_mov_b64 s[0:1], 0x407c000000000001
	s_delay_alu instid0(VALU_DEP_1) | instid1(SALU_CYCLE_1)
	v_cmp_gt_u64_e32 vcc_lo, s[0:1], v[6:7]
	v_and_b32_e32 v6, 0x80, v4
                                        ; implicit-def: $vgpr4
	s_and_saveexec_b32 s0, vcc_lo
	s_delay_alu instid0(SALU_CYCLE_1)
	s_xor_b32 s3, exec_lo, s0
	s_cbranch_execz .LBB69_26
; %bb.15:
	v_mov_b32_e32 v4, 0
	s_mov_b32 s4, exec_lo
	v_cmpx_ne_u64_e32 0, v[2:3]
	s_cbranch_execz .LBB69_25
; %bb.16:
	v_bfe_u32 v7, v3, 20, 11
	v_and_b32_e32 v3, 0xfffff, v3
	s_mov_b32 s5, 0
	s_delay_alu instid0(VALU_DEP_2) | instskip(SKIP_1) | instid1(VALU_DEP_3)
	v_sub_nc_u32_e64 v4, 0x3f9, v7 clamp
	v_cmp_eq_u32_e32 vcc_lo, 0, v7
	v_or_b32_e32 v5, 0x100000, v3
	s_delay_alu instid0(VALU_DEP_3) | instskip(NEXT) | instid1(VALU_DEP_1)
	v_cndmask_b32_e64 v14, v4, 0x3f8, vcc_lo
	v_dual_cndmask_b32 v3, v5, v3 :: v_dual_add_nc_u32 v4, 49, v14
	v_add_nc_u32_e32 v5, 48, v14
	s_delay_alu instid0(VALU_DEP_2) | instskip(NEXT) | instid1(VALU_DEP_3)
	v_lshrrev_b64 v[10:11], v14, v[2:3]
	v_lshlrev_b64_e64 v[8:9], v4, -1
	v_mov_b32_e32 v4, 0
	s_delay_alu instid0(VALU_DEP_4) | instskip(NEXT) | instid1(VALU_DEP_4)
	v_lshlrev_b64_e64 v[12:13], v5, 1
	v_and_b32_e32 v5, 0x20000, v11
	s_delay_alu instid0(VALU_DEP_4) | instskip(SKIP_1) | instid1(VALU_DEP_3)
	v_bfi_b32 v3, v9, 0, v3
	v_bfi_b32 v2, v8, 0, v2
	v_cmp_eq_u64_e64 s0, 0, v[4:5]
	v_add_nc_u32_e32 v5, 0xfffffc08, v7
	v_lshrrev_b32_e32 v7, 20, v11
	s_delay_alu instid0(VALU_DEP_4) | instskip(SKIP_1) | instid1(VALU_DEP_4)
	v_cmp_eq_u64_e64 s1, v[2:3], v[12:13]
	v_mov_b32_e32 v3, s5
	v_cndmask_b32_e64 v5, v5, 0xfffffc09, vcc_lo
	s_delay_alu instid0(VALU_DEP_1) | instskip(SKIP_1) | instid1(SALU_CYCLE_1)
	v_add3_u32 v7, v5, v14, v7
	s_and_b32 s0, s0, s1
                                        ; implicit-def: $vgpr5
	v_cndmask_b32_e64 v2, 0, 1, s0
	s_mov_b32 s0, exec_lo
	s_delay_alu instid0(VALU_DEP_2) | instskip(NEXT) | instid1(VALU_DEP_2)
	v_add_nc_u32_e32 v8, -1, v7
	v_sub_nc_u64_e32 v[2:3], v[10:11], v[2:3]
	s_delay_alu instid0(VALU_DEP_1) | instskip(NEXT) | instid1(VALU_DEP_1)
	v_and_b32_e32 v3, 0x1ffff, v3
	v_add_nc_u64_e32 v[2:3], v[2:3], v[10:11]
	s_delay_alu instid0(VALU_DEP_4)
	v_cmpx_ne_u32_e32 0, v8
	s_xor_b32 s0, exec_lo, s0
; %bb.17:
	s_delay_alu instid0(VALU_DEP_2) | instskip(SKIP_1) | instid1(VALU_DEP_2)
	v_and_b32_e32 v5, 0x200000, v3
	v_bfe_u32 v9, v3, 21, 1
	v_cmp_eq_u64_e32 vcc_lo, 0, v[4:5]
	s_delay_alu instid0(VALU_DEP_2)
	v_lshrrev_b64 v[2:3], v9, v[2:3]
	v_cndmask_b32_e32 v5, v7, v8, vcc_lo
; %bb.18:
	s_and_not1_saveexec_b32 s0, s0
; %bb.19:
	s_delay_alu instid0(VALU_DEP_2)
	v_bfe_u32 v5, v3, 20, 1
; %bb.20:
	s_or_b32 exec_lo, exec_lo, s0
	v_dual_mov_b32 v3, 0 :: v_dual_lshrrev_b32 v2, 17, v3
	s_delay_alu instid0(VALU_DEP_2) | instskip(SKIP_1) | instid1(VALU_DEP_3)
	v_cmp_gt_i32_e32 vcc_lo, 16, v5
	v_cmp_ne_u32_e64 s0, 0, v5
                                        ; implicit-def: $vgpr4
	v_cndmask_b32_e32 v2, 7, v2, vcc_lo
	s_delay_alu instid0(VALU_DEP_1) | instskip(SKIP_1) | instid1(SALU_CYCLE_1)
	v_cmp_ne_u64_e32 vcc_lo, 0, v[2:3]
	s_or_b32 s0, s0, vcc_lo
	s_and_saveexec_b32 s1, s0
	s_delay_alu instid0(SALU_CYCLE_1)
	s_xor_b32 s0, exec_lo, s1
; %bb.21:
	v_min_i32_e32 v3, 15, v5
	s_delay_alu instid0(VALU_DEP_1) | instskip(NEXT) | instid1(VALU_DEP_1)
	v_lshl_or_b32 v3, v3, 3, v6
                                        ; implicit-def: $vgpr6
	v_and_or_b32 v4, v2, 7, v3
; %bb.22:
	s_and_not1_saveexec_b32 s0, s0
; %bb.23:
	v_mov_b32_e32 v4, v6
; %bb.24:
	s_or_b32 exec_lo, exec_lo, s0
.LBB69_25:
	s_delay_alu instid0(SALU_CYCLE_1)
	s_or_b32 exec_lo, exec_lo, s4
                                        ; implicit-def: $vgpr6
.LBB69_26:
	s_and_not1_saveexec_b32 s0, s3
; %bb.27:
	v_or_b32_e32 v4, 0x7e, v6
; %bb.28:
	s_or_b32 exec_lo, exec_lo, s0
.LBB69_29:
	s_and_not1_saveexec_b32 s0, s2
	s_delay_alu instid0(SALU_CYCLE_1)
	s_or_b32 exec_lo, exec_lo, s0
	v_add_nc_u64_e32 v[0:1], s[12:13], v[0:1]
	global_store_b8 v[0:1], v4, off
.LBB69_30:
	s_endpgm
	.section	.rodata,"a",@progbits
	.p2align	6, 0x0
	.amdhsa_kernel _Z11fill_kernelI12hipblaslt_f8Z21hipblaslt_init_deviceIS0_Ev8ABC_dims24hipblaslt_initializationbPT_mmmmmEUlmE2_EvS5_mmT0_
		.amdhsa_group_segment_fixed_size 0
		.amdhsa_private_segment_fixed_size 0
		.amdhsa_kernarg_size 312
		.amdhsa_user_sgpr_count 2
		.amdhsa_user_sgpr_dispatch_ptr 0
		.amdhsa_user_sgpr_queue_ptr 0
		.amdhsa_user_sgpr_kernarg_segment_ptr 1
		.amdhsa_user_sgpr_dispatch_id 0
		.amdhsa_user_sgpr_kernarg_preload_length 0
		.amdhsa_user_sgpr_kernarg_preload_offset 0
		.amdhsa_user_sgpr_private_segment_size 0
		.amdhsa_wavefront_size32 1
		.amdhsa_uses_dynamic_stack 0
		.amdhsa_enable_private_segment 0
		.amdhsa_system_sgpr_workgroup_id_x 1
		.amdhsa_system_sgpr_workgroup_id_y 0
		.amdhsa_system_sgpr_workgroup_id_z 0
		.amdhsa_system_sgpr_workgroup_info 0
		.amdhsa_system_vgpr_workitem_id 0
		.amdhsa_next_free_vgpr 34
		.amdhsa_next_free_sgpr 24
		.amdhsa_named_barrier_count 0
		.amdhsa_reserve_vcc 1
		.amdhsa_float_round_mode_32 0
		.amdhsa_float_round_mode_16_64 0
		.amdhsa_float_denorm_mode_32 3
		.amdhsa_float_denorm_mode_16_64 3
		.amdhsa_fp16_overflow 0
		.amdhsa_memory_ordered 1
		.amdhsa_forward_progress 1
		.amdhsa_inst_pref_size 26
		.amdhsa_round_robin_scheduling 0
		.amdhsa_exception_fp_ieee_invalid_op 0
		.amdhsa_exception_fp_denorm_src 0
		.amdhsa_exception_fp_ieee_div_zero 0
		.amdhsa_exception_fp_ieee_overflow 0
		.amdhsa_exception_fp_ieee_underflow 0
		.amdhsa_exception_fp_ieee_inexact 0
		.amdhsa_exception_int_div_zero 0
	.end_amdhsa_kernel
	.section	.text._Z11fill_kernelI12hipblaslt_f8Z21hipblaslt_init_deviceIS0_Ev8ABC_dims24hipblaslt_initializationbPT_mmmmmEUlmE2_EvS5_mmT0_,"axG",@progbits,_Z11fill_kernelI12hipblaslt_f8Z21hipblaslt_init_deviceIS0_Ev8ABC_dims24hipblaslt_initializationbPT_mmmmmEUlmE2_EvS5_mmT0_,comdat
.Lfunc_end69:
	.size	_Z11fill_kernelI12hipblaslt_f8Z21hipblaslt_init_deviceIS0_Ev8ABC_dims24hipblaslt_initializationbPT_mmmmmEUlmE2_EvS5_mmT0_, .Lfunc_end69-_Z11fill_kernelI12hipblaslt_f8Z21hipblaslt_init_deviceIS0_Ev8ABC_dims24hipblaslt_initializationbPT_mmmmmEUlmE2_EvS5_mmT0_
                                        ; -- End function
	.set _Z11fill_kernelI12hipblaslt_f8Z21hipblaslt_init_deviceIS0_Ev8ABC_dims24hipblaslt_initializationbPT_mmmmmEUlmE2_EvS5_mmT0_.num_vgpr, 34
	.set _Z11fill_kernelI12hipblaslt_f8Z21hipblaslt_init_deviceIS0_Ev8ABC_dims24hipblaslt_initializationbPT_mmmmmEUlmE2_EvS5_mmT0_.num_agpr, 0
	.set _Z11fill_kernelI12hipblaslt_f8Z21hipblaslt_init_deviceIS0_Ev8ABC_dims24hipblaslt_initializationbPT_mmmmmEUlmE2_EvS5_mmT0_.numbered_sgpr, 24
	.set _Z11fill_kernelI12hipblaslt_f8Z21hipblaslt_init_deviceIS0_Ev8ABC_dims24hipblaslt_initializationbPT_mmmmmEUlmE2_EvS5_mmT0_.num_named_barrier, 0
	.set _Z11fill_kernelI12hipblaslt_f8Z21hipblaslt_init_deviceIS0_Ev8ABC_dims24hipblaslt_initializationbPT_mmmmmEUlmE2_EvS5_mmT0_.private_seg_size, 0
	.set _Z11fill_kernelI12hipblaslt_f8Z21hipblaslt_init_deviceIS0_Ev8ABC_dims24hipblaslt_initializationbPT_mmmmmEUlmE2_EvS5_mmT0_.uses_vcc, 1
	.set _Z11fill_kernelI12hipblaslt_f8Z21hipblaslt_init_deviceIS0_Ev8ABC_dims24hipblaslt_initializationbPT_mmmmmEUlmE2_EvS5_mmT0_.uses_flat_scratch, 0
	.set _Z11fill_kernelI12hipblaslt_f8Z21hipblaslt_init_deviceIS0_Ev8ABC_dims24hipblaslt_initializationbPT_mmmmmEUlmE2_EvS5_mmT0_.has_dyn_sized_stack, 0
	.set _Z11fill_kernelI12hipblaslt_f8Z21hipblaslt_init_deviceIS0_Ev8ABC_dims24hipblaslt_initializationbPT_mmmmmEUlmE2_EvS5_mmT0_.has_recursion, 0
	.set _Z11fill_kernelI12hipblaslt_f8Z21hipblaslt_init_deviceIS0_Ev8ABC_dims24hipblaslt_initializationbPT_mmmmmEUlmE2_EvS5_mmT0_.has_indirect_call, 0
	.section	.AMDGPU.csdata,"",@progbits
; Kernel info:
; codeLenInByte = 3324
; TotalNumSgprs: 26
; NumVgprs: 34
; ScratchSize: 0
; MemoryBound: 0
; FloatMode: 240
; IeeeMode: 1
; LDSByteSize: 0 bytes/workgroup (compile time only)
; SGPRBlocks: 0
; VGPRBlocks: 2
; NumSGPRsForWavesPerEU: 26
; NumVGPRsForWavesPerEU: 34
; NamedBarCnt: 0
; Occupancy: 16
; WaveLimiterHint : 0
; COMPUTE_PGM_RSRC2:SCRATCH_EN: 0
; COMPUTE_PGM_RSRC2:USER_SGPR: 2
; COMPUTE_PGM_RSRC2:TRAP_HANDLER: 0
; COMPUTE_PGM_RSRC2:TGID_X_EN: 1
; COMPUTE_PGM_RSRC2:TGID_Y_EN: 0
; COMPUTE_PGM_RSRC2:TGID_Z_EN: 0
; COMPUTE_PGM_RSRC2:TIDIG_COMP_CNT: 0
	.section	.text._Z11fill_kernelI12hipblaslt_f8Z21hipblaslt_init_deviceIS0_Ev8ABC_dims24hipblaslt_initializationbPT_mmmmmEUlmE3_EvS5_mmT0_,"axG",@progbits,_Z11fill_kernelI12hipblaslt_f8Z21hipblaslt_init_deviceIS0_Ev8ABC_dims24hipblaslt_initializationbPT_mmmmmEUlmE3_EvS5_mmT0_,comdat
	.protected	_Z11fill_kernelI12hipblaslt_f8Z21hipblaslt_init_deviceIS0_Ev8ABC_dims24hipblaslt_initializationbPT_mmmmmEUlmE3_EvS5_mmT0_ ; -- Begin function _Z11fill_kernelI12hipblaslt_f8Z21hipblaslt_init_deviceIS0_Ev8ABC_dims24hipblaslt_initializationbPT_mmmmmEUlmE3_EvS5_mmT0_
	.globl	_Z11fill_kernelI12hipblaslt_f8Z21hipblaslt_init_deviceIS0_Ev8ABC_dims24hipblaslt_initializationbPT_mmmmmEUlmE3_EvS5_mmT0_
	.p2align	8
	.type	_Z11fill_kernelI12hipblaslt_f8Z21hipblaslt_init_deviceIS0_Ev8ABC_dims24hipblaslt_initializationbPT_mmmmmEUlmE3_EvS5_mmT0_,@function
_Z11fill_kernelI12hipblaslt_f8Z21hipblaslt_init_deviceIS0_Ev8ABC_dims24hipblaslt_initializationbPT_mmmmmEUlmE3_EvS5_mmT0_: ; @_Z11fill_kernelI12hipblaslt_f8Z21hipblaslt_init_deviceIS0_Ev8ABC_dims24hipblaslt_initializationbPT_mmmmmEUlmE3_EvS5_mmT0_
; %bb.0:
	s_clause 0x1
	s_load_b32 s2, s[0:1], 0x44
	s_load_b128 s[12:15], s[0:1], 0x0
	s_bfe_u32 s3, ttmp6, 0x4000c
	s_and_b32 s4, ttmp6, 15
	s_add_co_i32 s3, s3, 1
	s_getreg_b32 s5, hwreg(HW_REG_IB_STS2, 6, 4)
	s_mul_i32 s3, ttmp9, s3
	v_mov_b32_e32 v3, 0
	s_add_co_i32 s4, s4, s3
	s_wait_kmcnt 0x0
	s_and_b32 s2, s2, 0xffff
	s_cmp_eq_u32 s5, 0
	s_cselect_b32 s3, ttmp9, s4
	s_delay_alu instid0(SALU_CYCLE_1) | instskip(SKIP_1) | instid1(VALU_DEP_1)
	v_mad_u32 v2, s3, s2, v0
	s_mov_b32 s2, exec_lo
	v_cmpx_gt_u64_e64 s[14:15], v[2:3]
	s_cbranch_execz .LBB70_30
; %bb.1:
	s_clause 0x1
	s_load_b64 s[2:3], s[0:1], 0x10
	s_load_b256 s[4:11], s[0:1], 0x18
	s_wait_xcnt 0x0
	s_mov_b32 s0, exec_lo
	v_mov_b32_e32 v4, v3
	s_wait_kmcnt 0x0
	v_add_nc_u64_e32 v[0:1], s[2:3], v[2:3]
                                        ; implicit-def: $vgpr2_vgpr3
	s_delay_alu instid0(VALU_DEP_1) | instskip(NEXT) | instid1(VALU_DEP_1)
	v_or_b32_e32 v5, s9, v1
	v_cmpx_ne_u64_e32 0, v[4:5]
	s_xor_b32 s1, exec_lo, s0
	s_cbranch_execz .LBB70_3
; %bb.2:
	s_cvt_f32_u32 s0, s8
	s_cvt_f32_u32 s2, s9
	s_sub_nc_u64 s[14:15], 0, s[8:9]
	s_mov_b32 s19, 0
	v_dual_mov_b32 v3, 0 :: v_dual_mov_b32 v2, v0
	s_fmamk_f32 s0, s2, 0x4f800000, s0
	s_delay_alu instid0(SALU_CYCLE_3) | instskip(NEXT) | instid1(TRANS32_DEP_1)
	v_s_rcp_f32 s0, s0
	s_mul_f32 s0, s0, 0x5f7ffffc
	s_delay_alu instid0(SALU_CYCLE_3) | instskip(NEXT) | instid1(SALU_CYCLE_3)
	s_mul_f32 s2, s0, 0x2f800000
	s_trunc_f32 s2, s2
	s_delay_alu instid0(SALU_CYCLE_3) | instskip(SKIP_1) | instid1(SALU_CYCLE_2)
	s_fmamk_f32 s0, s2, 0xcf800000, s0
	s_cvt_u32_f32 s3, s2
	s_cvt_u32_f32 s2, s0
	s_delay_alu instid0(SALU_CYCLE_3) | instskip(NEXT) | instid1(SALU_CYCLE_1)
	s_mul_u64 s[16:17], s[14:15], s[2:3]
	s_mul_hi_u32 s21, s2, s17
	s_mul_i32 s20, s2, s17
	s_mul_hi_u32 s18, s2, s16
	s_mul_i32 s22, s3, s16
	s_add_nc_u64 s[20:21], s[18:19], s[20:21]
	s_mul_hi_u32 s0, s3, s16
	s_mul_hi_u32 s23, s3, s17
	s_mul_i32 s16, s3, s17
	s_add_co_u32 s17, s20, s22
	s_add_co_ci_u32 s18, s21, s0
	s_add_co_ci_u32 s17, s23, 0
	s_delay_alu instid0(SALU_CYCLE_1) | instskip(NEXT) | instid1(SALU_CYCLE_1)
	s_add_nc_u64 s[16:17], s[18:19], s[16:17]
	s_add_co_u32 s2, s2, s16
	s_cselect_b32 s0, -1, 0
	s_delay_alu instid0(SALU_CYCLE_1) | instskip(SKIP_1) | instid1(SALU_CYCLE_1)
	s_cmp_lg_u32 s0, 0
	s_add_co_ci_u32 s3, s3, s17
	s_mul_u64 s[14:15], s[14:15], s[2:3]
	s_delay_alu instid0(SALU_CYCLE_1)
	s_mul_hi_u32 s17, s2, s15
	s_mul_i32 s16, s2, s15
	s_mul_hi_u32 s18, s2, s14
	s_mul_i32 s20, s3, s14
	s_add_nc_u64 s[16:17], s[18:19], s[16:17]
	s_mul_hi_u32 s0, s3, s14
	s_mul_hi_u32 s21, s3, s15
	s_mul_i32 s14, s3, s15
	s_add_co_u32 s15, s16, s20
	s_add_co_ci_u32 s18, s17, s0
	s_add_co_ci_u32 s15, s21, 0
	s_delay_alu instid0(SALU_CYCLE_1) | instskip(NEXT) | instid1(SALU_CYCLE_1)
	s_add_nc_u64 s[14:15], s[18:19], s[14:15]
	s_add_co_u32 s0, s2, s14
	s_cselect_b32 s2, -1, 0
	s_delay_alu instid0(SALU_CYCLE_1)
	s_cmp_lg_u32 s2, 0
	s_add_co_ci_u32 s18, s3, s15
	s_mov_b64 s[2:3], 0xffffffff
	v_mul_u64_e32 v[4:5], s[18:19], v[2:3]
	v_mul_hi_u32 v2, v0, s0
	s_and_b64 s[2:3], s[0:1], s[2:3]
	s_delay_alu instid0(VALU_DEP_1) | instskip(SKIP_1) | instid1(VALU_DEP_1)
	v_add_nc_u64_e32 v[4:5], v[2:3], v[4:5]
	v_mov_b32_e32 v2, v1
	v_mul_u64_e32 v[6:7], s[2:3], v[2:3]
	v_mul_u64_e32 v[8:9], s[18:19], v[2:3]
	s_delay_alu instid0(VALU_DEP_2) | instskip(NEXT) | instid1(VALU_DEP_3)
	v_add_co_u32 v2, vcc_lo, v4, v6
	v_add_co_ci_u32_e32 v2, vcc_lo, v5, v7, vcc_lo
	s_delay_alu instid0(VALU_DEP_3) | instskip(NEXT) | instid1(VALU_DEP_1)
	v_add_co_ci_u32_e32 v9, vcc_lo, 0, v9, vcc_lo
	v_add_nc_u64_e32 v[2:3], v[2:3], v[8:9]
	s_delay_alu instid0(VALU_DEP_1) | instskip(NEXT) | instid1(VALU_DEP_1)
	v_mul_u64_e32 v[4:5], s[8:9], v[2:3]
	v_sub_nc_u32_e32 v6, v1, v5
	s_delay_alu instid0(VALU_DEP_2) | instskip(NEXT) | instid1(VALU_DEP_1)
	v_sub_co_u32 v4, vcc_lo, v0, v4
	v_sub_co_ci_u32_e64 v11, null, v1, v5, vcc_lo
	s_delay_alu instid0(VALU_DEP_3) | instskip(NEXT) | instid1(VALU_DEP_3)
	v_subrev_co_ci_u32_e64 v6, null, s9, v6, vcc_lo
	v_sub_co_u32 v8, s0, v4, s8
	v_cmp_le_u32_e32 vcc_lo, s8, v4
	s_delay_alu instid0(VALU_DEP_3) | instskip(NEXT) | instid1(VALU_DEP_3)
	v_subrev_co_ci_u32_e64 v9, null, 0, v6, s0
	v_cmp_le_u32_e64 s0, s8, v8
	v_add_nc_u64_e32 v[6:7], 2, v[2:3]
	v_cndmask_b32_e64 v12, 0, -1, vcc_lo
	s_delay_alu instid0(VALU_DEP_4) | instskip(SKIP_3) | instid1(VALU_DEP_1)
	v_cmp_eq_u32_e32 vcc_lo, s9, v9
	v_add_nc_u64_e32 v[4:5], 1, v[2:3]
	v_cndmask_b32_e64 v8, 0, -1, s0
	v_cmp_le_u32_e64 s0, s9, v9
	v_cndmask_b32_e64 v10, 0, -1, s0
	v_cmp_eq_u32_e64 s0, s9, v11
	s_delay_alu instid0(VALU_DEP_2) | instskip(SKIP_2) | instid1(VALU_DEP_3)
	v_cndmask_b32_e32 v8, v10, v8, vcc_lo
	v_cmp_le_u32_e32 vcc_lo, s9, v11
	v_cndmask_b32_e64 v9, 0, -1, vcc_lo
	v_cmp_ne_u32_e32 vcc_lo, 0, v8
	s_delay_alu instid0(VALU_DEP_2) | instskip(SKIP_1) | instid1(VALU_DEP_2)
	v_dual_cndmask_b32 v8, v9, v12, s0 :: v_dual_cndmask_b32 v4, v4, v6, vcc_lo
	v_cndmask_b32_e32 v5, v5, v7, vcc_lo
	v_cmp_ne_u32_e32 vcc_lo, 0, v8
	s_delay_alu instid0(VALU_DEP_2)
	v_dual_cndmask_b32 v3, v3, v5 :: v_dual_cndmask_b32 v2, v2, v4
.LBB70_3:
	s_and_not1_saveexec_b32 s0, s1
	s_cbranch_execz .LBB70_5
; %bb.4:
	v_cvt_f32_u32_e32 v2, s8
	s_sub_co_i32 s1, 0, s8
	s_delay_alu instid0(VALU_DEP_1) | instskip(SKIP_1) | instid1(TRANS32_DEP_1)
	v_rcp_iflag_f32_e32 v2, v2
	v_nop
	v_mul_f32_e32 v2, 0x4f7ffffe, v2
	s_delay_alu instid0(VALU_DEP_1) | instskip(NEXT) | instid1(VALU_DEP_1)
	v_cvt_u32_f32_e32 v2, v2
	v_mul_lo_u32 v3, s1, v2
	s_delay_alu instid0(VALU_DEP_1) | instskip(NEXT) | instid1(VALU_DEP_1)
	v_mul_hi_u32 v3, v2, v3
	v_add_nc_u32_e32 v2, v2, v3
	s_delay_alu instid0(VALU_DEP_1) | instskip(NEXT) | instid1(VALU_DEP_1)
	v_mul_hi_u32 v2, v0, v2
	v_mul_lo_u32 v3, v2, s8
	s_delay_alu instid0(VALU_DEP_1) | instskip(NEXT) | instid1(VALU_DEP_1)
	v_dual_add_nc_u32 v4, 1, v2 :: v_dual_sub_nc_u32 v3, v0, v3
	v_subrev_nc_u32_e32 v5, s8, v3
	v_cmp_le_u32_e32 vcc_lo, s8, v3
	s_delay_alu instid0(VALU_DEP_2) | instskip(NEXT) | instid1(VALU_DEP_1)
	v_dual_cndmask_b32 v3, v3, v5 :: v_dual_cndmask_b32 v2, v2, v4
	v_cmp_le_u32_e32 vcc_lo, s8, v3
	s_delay_alu instid0(VALU_DEP_2) | instskip(NEXT) | instid1(VALU_DEP_1)
	v_dual_mov_b32 v3, 0 :: v_dual_add_nc_u32 v4, 1, v2
	v_cndmask_b32_e32 v2, v2, v4, vcc_lo
.LBB70_5:
	s_or_b32 exec_lo, exec_lo, s0
	s_delay_alu instid0(VALU_DEP_1) | instskip(SKIP_2) | instid1(VALU_DEP_2)
	v_mul_u64_e32 v[4:5], s[8:9], v[2:3]
                                        ; implicit-def: $vgpr8_vgpr9
	s_mov_b32 s0, exec_lo
	v_mov_b32_e32 v6, 0
	v_sub_nc_u64_e32 v[4:5], v[0:1], v[4:5]
	s_delay_alu instid0(VALU_DEP_1) | instskip(NEXT) | instid1(VALU_DEP_1)
	v_or_b32_e32 v7, s11, v5
	v_cmpx_ne_u64_e32 0, v[6:7]
	s_xor_b32 s1, exec_lo, s0
	s_cbranch_execz .LBB70_7
; %bb.6:
	s_cvt_f32_u32 s0, s10
	s_cvt_f32_u32 s2, s11
	s_sub_nc_u64 s[8:9], 0, s[10:11]
	s_mov_b32 s17, 0
	v_dual_mov_b32 v8, v4 :: v_dual_mov_b32 v9, v6
	s_fmamk_f32 s0, s2, 0x4f800000, s0
	v_dual_mov_b32 v10, v5 :: v_dual_mov_b32 v11, v6
	v_dual_mov_b32 v15, v6 :: v_dual_mov_b32 v7, v6
	s_delay_alu instid0(SALU_CYCLE_1) | instskip(NEXT) | instid1(TRANS32_DEP_1)
	v_s_rcp_f32 s0, s0
	s_mul_f32 s0, s0, 0x5f7ffffc
	s_delay_alu instid0(SALU_CYCLE_3) | instskip(NEXT) | instid1(SALU_CYCLE_3)
	s_mul_f32 s2, s0, 0x2f800000
	s_trunc_f32 s2, s2
	s_delay_alu instid0(SALU_CYCLE_3) | instskip(SKIP_1) | instid1(SALU_CYCLE_2)
	s_fmamk_f32 s0, s2, 0xcf800000, s0
	s_cvt_u32_f32 s3, s2
	s_cvt_u32_f32 s2, s0
	s_delay_alu instid0(SALU_CYCLE_3) | instskip(NEXT) | instid1(SALU_CYCLE_1)
	s_mul_u64 s[14:15], s[8:9], s[2:3]
	s_mul_hi_u32 s19, s2, s15
	s_mul_i32 s18, s2, s15
	s_mul_hi_u32 s16, s2, s14
	s_mul_i32 s20, s3, s14
	s_add_nc_u64 s[18:19], s[16:17], s[18:19]
	s_mul_hi_u32 s0, s3, s14
	s_mul_hi_u32 s21, s3, s15
	s_mul_i32 s14, s3, s15
	s_add_co_u32 s15, s18, s20
	s_add_co_ci_u32 s16, s19, s0
	s_add_co_ci_u32 s15, s21, 0
	s_delay_alu instid0(SALU_CYCLE_1) | instskip(NEXT) | instid1(SALU_CYCLE_1)
	s_add_nc_u64 s[14:15], s[16:17], s[14:15]
	s_add_co_u32 s2, s2, s14
	s_cselect_b32 s0, -1, 0
	s_delay_alu instid0(SALU_CYCLE_1) | instskip(SKIP_1) | instid1(SALU_CYCLE_1)
	s_cmp_lg_u32 s0, 0
	s_add_co_ci_u32 s3, s3, s15
	s_mul_u64 s[8:9], s[8:9], s[2:3]
	s_delay_alu instid0(SALU_CYCLE_1)
	s_mul_hi_u32 s15, s2, s9
	s_mul_i32 s14, s2, s9
	s_mul_hi_u32 s16, s2, s8
	s_mul_i32 s18, s3, s8
	s_add_nc_u64 s[14:15], s[16:17], s[14:15]
	s_mul_hi_u32 s0, s3, s8
	s_mul_hi_u32 s19, s3, s9
	s_mul_i32 s8, s3, s9
	s_add_co_u32 s9, s14, s18
	s_add_co_ci_u32 s16, s15, s0
	s_add_co_ci_u32 s9, s19, 0
	s_delay_alu instid0(SALU_CYCLE_1) | instskip(NEXT) | instid1(SALU_CYCLE_1)
	s_add_nc_u64 s[8:9], s[16:17], s[8:9]
	s_add_co_u32 s0, s2, s8
	s_cselect_b32 s2, -1, 0
	v_nop
	v_mul_hi_u32 v14, v4, s0
	s_cmp_lg_u32 s2, 0
	s_add_co_ci_u32 s16, s3, s9
	s_mov_b64 s[2:3], 0xffffffff
	v_mul_u64_e32 v[8:9], s[16:17], v[8:9]
	s_and_b64 s[2:3], s[0:1], s[2:3]
	s_delay_alu instid0(SALU_CYCLE_1) | instskip(SKIP_1) | instid1(VALU_DEP_3)
	v_mul_u64_e32 v[12:13], s[2:3], v[10:11]
	v_mul_u64_e32 v[10:11], s[16:17], v[10:11]
	v_add_nc_u64_e32 v[8:9], v[14:15], v[8:9]
	s_delay_alu instid0(VALU_DEP_1) | instskip(NEXT) | instid1(VALU_DEP_2)
	v_add_co_u32 v6, vcc_lo, v8, v12
	v_add_co_ci_u32_e32 v6, vcc_lo, v9, v13, vcc_lo
	s_delay_alu instid0(VALU_DEP_4) | instskip(NEXT) | instid1(VALU_DEP_1)
	v_add_co_ci_u32_e32 v11, vcc_lo, 0, v11, vcc_lo
	v_add_nc_u64_e32 v[6:7], v[6:7], v[10:11]
	s_delay_alu instid0(VALU_DEP_1) | instskip(NEXT) | instid1(VALU_DEP_1)
	v_mul_u64_e32 v[8:9], s[10:11], v[6:7]
	v_sub_nc_u32_e32 v10, v5, v9
	s_delay_alu instid0(VALU_DEP_2) | instskip(NEXT) | instid1(VALU_DEP_1)
	v_sub_co_u32 v8, vcc_lo, v4, v8
	v_sub_co_ci_u32_e64 v15, null, v5, v9, vcc_lo
	s_delay_alu instid0(VALU_DEP_3) | instskip(NEXT) | instid1(VALU_DEP_3)
	v_subrev_co_ci_u32_e64 v10, null, s11, v10, vcc_lo
	v_sub_co_u32 v12, s0, v8, s10
	v_cmp_le_u32_e32 vcc_lo, s10, v8
	s_delay_alu instid0(VALU_DEP_3) | instskip(NEXT) | instid1(VALU_DEP_3)
	v_subrev_co_ci_u32_e64 v13, null, 0, v10, s0
	v_cmp_le_u32_e64 s0, s10, v12
	v_add_nc_u64_e32 v[10:11], 2, v[6:7]
	v_cndmask_b32_e64 v16, 0, -1, vcc_lo
	s_delay_alu instid0(VALU_DEP_4) | instskip(SKIP_3) | instid1(VALU_DEP_1)
	v_cmp_eq_u32_e32 vcc_lo, s11, v13
	v_add_nc_u64_e32 v[8:9], 1, v[6:7]
	v_cndmask_b32_e64 v12, 0, -1, s0
	v_cmp_le_u32_e64 s0, s11, v13
	v_cndmask_b32_e64 v14, 0, -1, s0
	v_cmp_eq_u32_e64 s0, s11, v15
	s_delay_alu instid0(VALU_DEP_2) | instskip(SKIP_2) | instid1(VALU_DEP_3)
	v_cndmask_b32_e32 v12, v14, v12, vcc_lo
	v_cmp_le_u32_e32 vcc_lo, s11, v15
	v_cndmask_b32_e64 v13, 0, -1, vcc_lo
	v_cmp_ne_u32_e32 vcc_lo, 0, v12
	s_delay_alu instid0(VALU_DEP_2) | instskip(SKIP_1) | instid1(VALU_DEP_2)
	v_dual_cndmask_b32 v12, v13, v16, s0 :: v_dual_cndmask_b32 v8, v8, v10, vcc_lo
	v_cndmask_b32_e32 v9, v9, v11, vcc_lo
	v_cmp_ne_u32_e32 vcc_lo, 0, v12
	s_delay_alu instid0(VALU_DEP_2)
	v_dual_cndmask_b32 v8, v6, v8 :: v_dual_cndmask_b32 v9, v7, v9
.LBB70_7:
	s_and_not1_saveexec_b32 s0, s1
	s_cbranch_execz .LBB70_9
; %bb.8:
	v_cvt_f32_u32_e32 v6, s10
	s_sub_co_i32 s1, 0, s10
	s_delay_alu instid0(VALU_DEP_1) | instskip(SKIP_1) | instid1(TRANS32_DEP_1)
	v_rcp_iflag_f32_e32 v6, v6
	v_nop
	v_mul_f32_e32 v6, 0x4f7ffffe, v6
	s_delay_alu instid0(VALU_DEP_1) | instskip(NEXT) | instid1(VALU_DEP_1)
	v_cvt_u32_f32_e32 v6, v6
	v_mul_lo_u32 v7, s1, v6
	s_delay_alu instid0(VALU_DEP_1) | instskip(NEXT) | instid1(VALU_DEP_1)
	v_mul_hi_u32 v7, v6, v7
	v_add_nc_u32_e32 v6, v6, v7
	s_delay_alu instid0(VALU_DEP_1) | instskip(NEXT) | instid1(VALU_DEP_1)
	v_mul_hi_u32 v6, v4, v6
	v_mul_lo_u32 v7, v6, s10
	s_delay_alu instid0(VALU_DEP_1) | instskip(NEXT) | instid1(VALU_DEP_1)
	v_dual_add_nc_u32 v8, 1, v6 :: v_dual_sub_nc_u32 v7, v4, v7
	v_subrev_nc_u32_e32 v9, s10, v7
	v_cmp_le_u32_e32 vcc_lo, s10, v7
	s_delay_alu instid0(VALU_DEP_2) | instskip(NEXT) | instid1(VALU_DEP_4)
	v_dual_cndmask_b32 v7, v7, v9, vcc_lo :: v_dual_mov_b32 v9, 0
	v_cndmask_b32_e32 v6, v6, v8, vcc_lo
	s_delay_alu instid0(VALU_DEP_2) | instskip(NEXT) | instid1(VALU_DEP_2)
	v_cmp_le_u32_e32 vcc_lo, s10, v7
	v_add_nc_u32_e32 v8, 1, v6
	s_delay_alu instid0(VALU_DEP_1)
	v_cndmask_b32_e32 v8, v6, v8, vcc_lo
.LBB70_9:
	s_or_b32 exec_lo, exec_lo, s0
	s_delay_alu instid0(VALU_DEP_1) | instskip(SKIP_1) | instid1(VALU_DEP_1)
	v_mul_u64_e32 v[6:7], s[10:11], v[8:9]
	v_mad_nc_u64_u32 v[8:9], v2, s6, v[8:9]
	v_mad_u32 v3, v3, s6, v9
	s_delay_alu instid0(VALU_DEP_1) | instskip(NEXT) | instid1(VALU_DEP_4)
	v_mad_u32 v2, v2, s7, v3
	v_sub_nc_u64_e32 v[4:5], v[4:5], v[6:7]
	s_delay_alu instid0(VALU_DEP_1) | instskip(NEXT) | instid1(VALU_DEP_1)
	v_mad_nc_u64_u32 v[4:5], v8, s4, v[4:5]
	v_mad_u32 v2, v2, s4, v5
	s_delay_alu instid0(VALU_DEP_2) | instskip(NEXT) | instid1(VALU_DEP_2)
	v_cvt_f64_u32_e32 v[6:7], v4
	v_mad_u32 v5, v8, s5, v2
                                        ; implicit-def: $vgpr8
	s_delay_alu instid0(VALU_DEP_1) | instskip(SKIP_1) | instid1(VALU_DEP_2)
	v_cvt_f64_u32_e32 v[2:3], v5
	v_cmp_lt_u64_e32 vcc_lo, 0x3fffffff, v[4:5]
                                        ; implicit-def: $vgpr4_vgpr5
	v_ldexp_f64 v[2:3], v[2:3], 32
	s_delay_alu instid0(VALU_DEP_1) | instskip(SKIP_1) | instid1(SALU_CYCLE_1)
	v_add_f64_e32 v[2:3], v[2:3], v[6:7]
                                        ; implicit-def: $vgpr6_vgpr7
	s_and_saveexec_b32 s0, vcc_lo
	s_xor_b32 s0, exec_lo, s0
	s_cbranch_execz .LBB70_11
; %bb.10:
	s_delay_alu instid0(VALU_DEP_1) | instskip(SKIP_3) | instid1(VALU_DEP_3)
	v_trig_preop_f64 v[4:5], v[2:3], 0
	v_trig_preop_f64 v[6:7], v[2:3], 1
	v_trig_preop_f64 v[16:17], v[2:3], 2
	s_mov_b64 s[2:3], 0x3ff921fb54442d18
	v_dual_mul_f64 v[8:9], v[4:5], v[2:3] :: v_dual_mov_b32 v24, 0
	s_delay_alu instid0(VALU_DEP_3) | instskip(NEXT) | instid1(VALU_DEP_3)
	v_mul_f64_e32 v[10:11], v[6:7], v[2:3]
	v_mul_f64_e32 v[22:23], v[16:17], v[2:3]
	s_delay_alu instid0(VALU_DEP_3) | instskip(NEXT) | instid1(VALU_DEP_3)
	v_fma_f64 v[4:5], v[4:5], v[2:3], -v[8:9]
	v_fma_f64 v[6:7], v[6:7], v[2:3], -v[10:11]
	s_delay_alu instid0(VALU_DEP_3) | instskip(NEXT) | instid1(VALU_DEP_3)
	v_fma_f64 v[2:3], v[16:17], v[2:3], -v[22:23]
	v_add_f64_e32 v[12:13], v[10:11], v[4:5]
	s_delay_alu instid0(VALU_DEP_1) | instskip(SKIP_1) | instid1(VALU_DEP_2)
	v_add_f64_e64 v[14:15], v[12:13], -v[10:11]
	v_add_f64_e32 v[20:21], v[8:9], v[12:13]
	v_add_f64_e64 v[18:19], v[12:13], -v[14:15]
	v_add_f64_e64 v[4:5], v[4:5], -v[14:15]
	s_delay_alu instid0(VALU_DEP_3) | instskip(NEXT) | instid1(VALU_DEP_3)
	v_ldexp_f64 v[14:15], v[20:21], -2
	v_add_f64_e64 v[10:11], v[10:11], -v[18:19]
	v_add_f64_e32 v[18:19], v[22:23], v[6:7]
	s_delay_alu instid0(VALU_DEP_3) | instskip(NEXT) | instid1(VALU_DEP_3)
	v_cmp_neq_f64_e64 vcc_lo, 0x7ff00000, |v[14:15]|
	v_add_f64_e32 v[4:5], v[4:5], v[10:11]
	v_fract_f64_e32 v[10:11], v[14:15]
	s_delay_alu instid0(VALU_DEP_1) | instskip(NEXT) | instid1(VALU_DEP_1)
	v_ldexp_f64 v[10:11], v[10:11], 2
	v_dual_add_f64 v[8:9], v[20:21], -v[8:9] :: v_dual_cndmask_b32 v10, 0, v10, vcc_lo
	s_delay_alu instid0(VALU_DEP_1) | instskip(SKIP_1) | instid1(VALU_DEP_1)
	v_dual_add_f64 v[8:9], v[12:13], -v[8:9] :: v_dual_cndmask_b32 v11, 0, v11, vcc_lo
	v_add_f64_e32 v[12:13], v[18:19], v[4:5]
	v_add_f64_e32 v[14:15], v[8:9], v[12:13]
	v_add_f64_e64 v[26:27], v[12:13], -v[18:19]
	s_delay_alu instid0(VALU_DEP_2) | instskip(NEXT) | instid1(VALU_DEP_2)
	v_add_f64_e32 v[20:21], v[14:15], v[10:11]
	v_add_f64_e64 v[32:33], v[12:13], -v[26:27]
	v_add_f64_e64 v[4:5], v[4:5], -v[26:27]
	;; [unrolled: 1-line block ×3, first 2 shown]
	s_delay_alu instid0(VALU_DEP_4) | instskip(SKIP_1) | instid1(VALU_DEP_3)
	v_cmp_gt_f64_e32 vcc_lo, 0, v[20:21]
	v_add_f64_e64 v[20:21], v[18:19], -v[22:23]
	v_add_f64_e64 v[8:9], v[12:13], -v[8:9]
	v_cndmask_b32_e64 v25, 0, 0x40100000, vcc_lo
	s_delay_alu instid0(VALU_DEP_3) | instskip(SKIP_2) | instid1(VALU_DEP_4)
	v_add_f64_e64 v[30:31], v[18:19], -v[20:21]
	v_add_f64_e64 v[6:7], v[6:7], -v[20:21]
	;; [unrolled: 1-line block ×3, first 2 shown]
	v_add_f64_e32 v[10:11], v[10:11], v[24:25]
	s_delay_alu instid0(VALU_DEP_4) | instskip(NEXT) | instid1(VALU_DEP_3)
	v_add_f64_e64 v[20:21], v[22:23], -v[30:31]
	v_add_f64_e32 v[4:5], v[4:5], v[18:19]
	s_delay_alu instid0(VALU_DEP_3) | instskip(NEXT) | instid1(VALU_DEP_3)
	v_add_f64_e32 v[28:29], v[14:15], v[10:11]
	v_add_f64_e32 v[6:7], v[6:7], v[20:21]
	s_delay_alu instid0(VALU_DEP_2) | instskip(NEXT) | instid1(VALU_DEP_2)
	v_cvt_i32_f64_e32 v25, v[28:29]
	v_add_f64_e32 v[4:5], v[6:7], v[4:5]
	s_delay_alu instid0(VALU_DEP_2) | instskip(NEXT) | instid1(VALU_DEP_2)
	v_cvt_f64_i32_e32 v[26:27], v25
	v_add_f64_e32 v[2:3], v[2:3], v[4:5]
	s_delay_alu instid0(VALU_DEP_2) | instskip(NEXT) | instid1(VALU_DEP_2)
	v_add_f64_e64 v[10:11], v[10:11], -v[26:27]
	v_add_f64_e32 v[2:3], v[8:9], v[2:3]
	s_delay_alu instid0(VALU_DEP_2) | instskip(NEXT) | instid1(VALU_DEP_1)
	v_add_f64_e32 v[6:7], v[14:15], v[10:11]
	v_add_f64_e64 v[4:5], v[6:7], -v[10:11]
	v_cmp_le_f64_e32 vcc_lo, 0.5, v[6:7]
	s_delay_alu instid0(VALU_DEP_2) | instskip(SKIP_2) | instid1(VALU_DEP_3)
	v_add_f64_e64 v[4:5], v[14:15], -v[4:5]
	v_add_co_ci_u32_e64 v8, null, 0, v25, vcc_lo
	v_cndmask_b32_e64 v25, 0, 0x3ff00000, vcc_lo
	v_add_f64_e32 v[2:3], v[2:3], v[4:5]
	s_delay_alu instid0(VALU_DEP_2) | instskip(NEXT) | instid1(VALU_DEP_1)
	v_add_f64_e64 v[4:5], v[6:7], -v[24:25]
	v_add_f64_e32 v[6:7], v[4:5], v[2:3]
	s_delay_alu instid0(VALU_DEP_1) | instskip(SKIP_1) | instid1(VALU_DEP_2)
	v_mul_f64_e32 v[10:11], 0x3ff921fb54442d18, v[6:7]
	v_add_f64_e64 v[4:5], v[6:7], -v[4:5]
	v_fma_f64 v[12:13], v[6:7], s[2:3], -v[10:11]
	s_delay_alu instid0(VALU_DEP_2) | instskip(NEXT) | instid1(VALU_DEP_2)
	v_add_f64_e64 v[2:3], v[2:3], -v[4:5]
	v_fmamk_f64 v[6:7], v[6:7], 0x3c91a62633145c07, v[12:13]
	s_delay_alu instid0(VALU_DEP_1) | instskip(NEXT) | instid1(VALU_DEP_1)
	v_fmac_f64_e32 v[6:7], 0x3ff921fb54442d18, v[2:3]
	v_add_f64_e32 v[4:5], v[10:11], v[6:7]
	s_delay_alu instid0(VALU_DEP_1) | instskip(NEXT) | instid1(VALU_DEP_1)
	v_add_f64_e64 v[2:3], v[4:5], -v[10:11]
	v_add_f64_e64 v[6:7], v[6:7], -v[2:3]
                                        ; implicit-def: $vgpr2_vgpr3
.LBB70_11:
	s_and_not1_saveexec_b32 s0, s0
	s_cbranch_execz .LBB70_13
; %bb.12:
	s_delay_alu instid0(VALU_DEP_1) | instskip(NEXT) | instid1(VALU_DEP_1)
	v_mul_f64_e32 v[4:5], 0x3fe45f306dc9c883, v[2:3]
	v_rndne_f64_e32 v[8:9], v[4:5]
	s_delay_alu instid0(VALU_DEP_1) | instskip(SKIP_1) | instid1(VALU_DEP_1)
	v_mul_f64_e32 v[4:5], 0xbc91a62633145c00, v[8:9]
	v_fmamk_f64 v[2:3], v[8:9], 0xbff921fb54442d18, v[2:3]
	v_add_f64_e32 v[6:7], v[2:3], v[4:5]
	s_delay_alu instid0(VALU_DEP_1) | instskip(SKIP_1) | instid1(VALU_DEP_1)
	v_add_f64_e64 v[10:11], v[2:3], -v[6:7]
	v_fmamk_f64 v[2:3], v[8:9], 0xbc91a62633145c00, v[2:3]
	v_add_f64_e64 v[6:7], v[6:7], -v[2:3]
	s_delay_alu instid0(VALU_DEP_3) | instskip(SKIP_1) | instid1(VALU_DEP_2)
	v_add_f64_e32 v[10:11], v[10:11], v[4:5]
	v_fmamk_f64 v[4:5], v[8:9], 0x3c91a62633145c00, v[4:5]
	v_add_f64_e32 v[6:7], v[6:7], v[10:11]
	s_delay_alu instid0(VALU_DEP_1) | instskip(NEXT) | instid1(VALU_DEP_1)
	v_add_f64_e64 v[4:5], v[6:7], -v[4:5]
	v_fmamk_f64 v[6:7], v[8:9], 0xb97b839a252049c0, v[4:5]
	v_cvt_i32_f64_e32 v8, v[8:9]
	s_delay_alu instid0(VALU_DEP_2) | instskip(NEXT) | instid1(VALU_DEP_1)
	v_add_f64_e32 v[4:5], v[2:3], v[6:7]
	v_add_f64_e64 v[2:3], v[4:5], -v[2:3]
	s_delay_alu instid0(VALU_DEP_1)
	v_add_f64_e64 v[6:7], v[6:7], -v[2:3]
.LBB70_13:
	s_or_b32 exec_lo, exec_lo, s0
	v_mul_f64_e32 v[2:3], v[4:5], v[4:5]
	s_delay_alu instid0(VALU_DEP_2) | instskip(SKIP_1) | instid1(VALU_DEP_2)
	v_mul_f64_e32 v[16:17], 0.5, v[6:7]
	s_mov_b64 s[0:1], 0x3de5e0b2f9a43bb8
	v_mul_f64_e32 v[10:11], 0.5, v[2:3]
	v_mul_f64_e64 v[18:19], v[4:5], -v[2:3]
	v_fmaak_f64 v[20:21], s[0:1], v[2:3], 0xbe5ae600b42fdfa7
	s_mov_b64 s[0:1], 0xbda907db46cc5e42
	s_delay_alu instid0(VALU_DEP_1) | instskip(NEXT) | instid1(VALU_DEP_4)
	v_fmaak_f64 v[20:21], v[2:3], v[20:21], 0x3ec71de3796cde01
	v_add_f64_e64 v[12:13], -v[10:11], 1.0
	s_delay_alu instid0(VALU_DEP_1) | instskip(NEXT) | instid1(VALU_DEP_1)
	v_add_f64_e64 v[14:15], -v[12:13], 1.0
	v_add_f64_e64 v[10:11], v[14:15], -v[10:11]
	s_delay_alu instid0(VALU_DEP_4) | instskip(SKIP_1) | instid1(VALU_DEP_2)
	v_fmaak_f64 v[14:15], v[2:3], v[20:21], 0xbf2a01a019e83e5c
	v_mul_f64_e32 v[20:21], v[2:3], v[2:3]
	v_fmaak_f64 v[14:15], v[2:3], v[14:15], 0x3f81111111110bb3
	s_delay_alu instid0(VALU_DEP_1) | instskip(SKIP_2) | instid1(VALU_DEP_1)
	v_fmac_f64_e32 v[16:17], v[18:19], v[14:15]
	v_fmaak_f64 v[14:15], s[0:1], v[2:3], 0x3e21eeb69037ab78
	s_mov_b64 s[0:1], 0x7ff0000000000000
	v_fmaak_f64 v[14:15], v[2:3], v[14:15], 0xbe927e4fa17f65f6
	s_delay_alu instid0(VALU_DEP_1) | instskip(SKIP_1) | instid1(VALU_DEP_2)
	v_fmaak_f64 v[14:15], v[2:3], v[14:15], 0x3efa01a019f4ec90
	v_fma_f64 v[10:11], v[4:5], -v[6:7], v[10:11]
	v_fmaak_f64 v[14:15], v[2:3], v[14:15], 0xbf56c16c16c16967
	v_fma_f64 v[6:7], v[2:3], v[16:17], -v[6:7]
	s_delay_alu instid0(VALU_DEP_2) | instskip(NEXT) | instid1(VALU_DEP_1)
	v_fmaak_f64 v[2:3], v[2:3], v[14:15], 0x3fa5555555555555
	v_fmac_f64_e32 v[10:11], v[20:21], v[2:3]
	s_delay_alu instid0(VALU_DEP_3) | instskip(SKIP_1) | instid1(VALU_DEP_1)
	v_fmamk_f64 v[2:3], v[18:19], 0xbfc5555555555555, v[6:7]
	v_dual_lshlrev_b32 v7, 30, v8 :: v_dual_bitop2_b32 v6, 1, v8 bitop3:0x40
	v_cmp_eq_u32_e32 vcc_lo, 0, v6
	s_delay_alu instid0(VALU_DEP_3) | instskip(NEXT) | instid1(VALU_DEP_3)
	v_add_f64_e64 v[2:3], v[4:5], -v[2:3]
	v_and_b32_e32 v6, 0x80000000, v7
	v_add_f64_e32 v[4:5], v[12:13], v[10:11]
	s_delay_alu instid0(VALU_DEP_3) | instskip(NEXT) | instid1(VALU_DEP_1)
	v_xor_b32_e32 v3, 0x80000000, v3
	v_dual_cndmask_b32 v3, v3, v5 :: v_dual_cndmask_b32 v2, v2, v4
	v_mov_b32_e32 v4, 0
	s_delay_alu instid0(VALU_DEP_2) | instskip(SKIP_1) | instid1(VALU_DEP_2)
	v_bitop3_b32 v5, v3, 0x7ff00000, v6 bitop3:0x48
	v_bitop3_b32 v3, v3, v7, 0x80000000 bitop3:0x78
	v_cmp_ne_u64_e32 vcc_lo, s[0:1], v[4:5]
	s_delay_alu instid0(VALU_DEP_2) | instskip(SKIP_1) | instid1(SALU_CYCLE_1)
	v_lshrrev_b32_e32 v4, 24, v3
	s_and_saveexec_b32 s0, vcc_lo
	s_xor_b32 s2, exec_lo, s0
	s_cbranch_execz .LBB70_29
; %bb.14:
	v_and_b32_e32 v7, 0x7fffffff, v3
	v_mov_b32_e32 v6, v2
	s_mov_b64 s[0:1], 0x407c000000000001
	s_delay_alu instid0(VALU_DEP_1) | instid1(SALU_CYCLE_1)
	v_cmp_gt_u64_e32 vcc_lo, s[0:1], v[6:7]
	v_and_b32_e32 v6, 0x80, v4
                                        ; implicit-def: $vgpr4
	s_and_saveexec_b32 s0, vcc_lo
	s_delay_alu instid0(SALU_CYCLE_1)
	s_xor_b32 s3, exec_lo, s0
	s_cbranch_execz .LBB70_26
; %bb.15:
	v_mov_b32_e32 v4, 0
	s_mov_b32 s4, exec_lo
	v_cmpx_ne_u64_e32 0, v[2:3]
	s_cbranch_execz .LBB70_25
; %bb.16:
	v_bfe_u32 v7, v3, 20, 11
	v_and_b32_e32 v3, 0xfffff, v3
	s_mov_b32 s5, 0
	s_delay_alu instid0(VALU_DEP_2) | instskip(SKIP_1) | instid1(VALU_DEP_3)
	v_sub_nc_u32_e64 v4, 0x3f9, v7 clamp
	v_cmp_eq_u32_e32 vcc_lo, 0, v7
	v_or_b32_e32 v5, 0x100000, v3
	s_delay_alu instid0(VALU_DEP_3) | instskip(NEXT) | instid1(VALU_DEP_1)
	v_cndmask_b32_e64 v14, v4, 0x3f8, vcc_lo
	v_dual_cndmask_b32 v3, v5, v3 :: v_dual_add_nc_u32 v4, 49, v14
	v_add_nc_u32_e32 v5, 48, v14
	s_delay_alu instid0(VALU_DEP_2) | instskip(NEXT) | instid1(VALU_DEP_3)
	v_lshrrev_b64 v[10:11], v14, v[2:3]
	v_lshlrev_b64_e64 v[8:9], v4, -1
	v_mov_b32_e32 v4, 0
	s_delay_alu instid0(VALU_DEP_4) | instskip(NEXT) | instid1(VALU_DEP_4)
	v_lshlrev_b64_e64 v[12:13], v5, 1
	v_and_b32_e32 v5, 0x20000, v11
	s_delay_alu instid0(VALU_DEP_4) | instskip(SKIP_1) | instid1(VALU_DEP_3)
	v_bfi_b32 v3, v9, 0, v3
	v_bfi_b32 v2, v8, 0, v2
	v_cmp_eq_u64_e64 s0, 0, v[4:5]
	v_add_nc_u32_e32 v5, 0xfffffc08, v7
	v_lshrrev_b32_e32 v7, 20, v11
	s_delay_alu instid0(VALU_DEP_4) | instskip(SKIP_1) | instid1(VALU_DEP_4)
	v_cmp_eq_u64_e64 s1, v[2:3], v[12:13]
	v_mov_b32_e32 v3, s5
	v_cndmask_b32_e64 v5, v5, 0xfffffc09, vcc_lo
	s_delay_alu instid0(VALU_DEP_1) | instskip(SKIP_1) | instid1(SALU_CYCLE_1)
	v_add3_u32 v7, v5, v14, v7
	s_and_b32 s0, s0, s1
                                        ; implicit-def: $vgpr5
	v_cndmask_b32_e64 v2, 0, 1, s0
	s_mov_b32 s0, exec_lo
	s_delay_alu instid0(VALU_DEP_2) | instskip(NEXT) | instid1(VALU_DEP_2)
	v_add_nc_u32_e32 v8, -1, v7
	v_sub_nc_u64_e32 v[2:3], v[10:11], v[2:3]
	s_delay_alu instid0(VALU_DEP_1) | instskip(NEXT) | instid1(VALU_DEP_1)
	v_and_b32_e32 v3, 0x1ffff, v3
	v_add_nc_u64_e32 v[2:3], v[2:3], v[10:11]
	s_delay_alu instid0(VALU_DEP_4)
	v_cmpx_ne_u32_e32 0, v8
	s_xor_b32 s0, exec_lo, s0
; %bb.17:
	s_delay_alu instid0(VALU_DEP_2) | instskip(SKIP_1) | instid1(VALU_DEP_2)
	v_and_b32_e32 v5, 0x200000, v3
	v_bfe_u32 v9, v3, 21, 1
	v_cmp_eq_u64_e32 vcc_lo, 0, v[4:5]
	s_delay_alu instid0(VALU_DEP_2)
	v_lshrrev_b64 v[2:3], v9, v[2:3]
	v_cndmask_b32_e32 v5, v7, v8, vcc_lo
; %bb.18:
	s_and_not1_saveexec_b32 s0, s0
; %bb.19:
	s_delay_alu instid0(VALU_DEP_2)
	v_bfe_u32 v5, v3, 20, 1
; %bb.20:
	s_or_b32 exec_lo, exec_lo, s0
	v_dual_mov_b32 v3, 0 :: v_dual_lshrrev_b32 v2, 17, v3
	s_delay_alu instid0(VALU_DEP_2) | instskip(SKIP_1) | instid1(VALU_DEP_3)
	v_cmp_gt_i32_e32 vcc_lo, 16, v5
	v_cmp_ne_u32_e64 s0, 0, v5
                                        ; implicit-def: $vgpr4
	v_cndmask_b32_e32 v2, 7, v2, vcc_lo
	s_delay_alu instid0(VALU_DEP_1) | instskip(SKIP_1) | instid1(SALU_CYCLE_1)
	v_cmp_ne_u64_e32 vcc_lo, 0, v[2:3]
	s_or_b32 s0, s0, vcc_lo
	s_and_saveexec_b32 s1, s0
	s_delay_alu instid0(SALU_CYCLE_1)
	s_xor_b32 s0, exec_lo, s1
; %bb.21:
	v_min_i32_e32 v3, 15, v5
	s_delay_alu instid0(VALU_DEP_1) | instskip(NEXT) | instid1(VALU_DEP_1)
	v_lshl_or_b32 v3, v3, 3, v6
                                        ; implicit-def: $vgpr6
	v_and_or_b32 v4, v2, 7, v3
; %bb.22:
	s_and_not1_saveexec_b32 s0, s0
; %bb.23:
	v_mov_b32_e32 v4, v6
; %bb.24:
	s_or_b32 exec_lo, exec_lo, s0
.LBB70_25:
	s_delay_alu instid0(SALU_CYCLE_1)
	s_or_b32 exec_lo, exec_lo, s4
                                        ; implicit-def: $vgpr6
.LBB70_26:
	s_and_not1_saveexec_b32 s0, s3
; %bb.27:
	v_or_b32_e32 v4, 0x7e, v6
; %bb.28:
	s_or_b32 exec_lo, exec_lo, s0
.LBB70_29:
	s_and_not1_saveexec_b32 s0, s2
	s_delay_alu instid0(SALU_CYCLE_1)
	s_or_b32 exec_lo, exec_lo, s0
	v_add_nc_u64_e32 v[0:1], s[12:13], v[0:1]
	global_store_b8 v[0:1], v4, off
.LBB70_30:
	s_endpgm
	.section	.rodata,"a",@progbits
	.p2align	6, 0x0
	.amdhsa_kernel _Z11fill_kernelI12hipblaslt_f8Z21hipblaslt_init_deviceIS0_Ev8ABC_dims24hipblaslt_initializationbPT_mmmmmEUlmE3_EvS5_mmT0_
		.amdhsa_group_segment_fixed_size 0
		.amdhsa_private_segment_fixed_size 0
		.amdhsa_kernarg_size 312
		.amdhsa_user_sgpr_count 2
		.amdhsa_user_sgpr_dispatch_ptr 0
		.amdhsa_user_sgpr_queue_ptr 0
		.amdhsa_user_sgpr_kernarg_segment_ptr 1
		.amdhsa_user_sgpr_dispatch_id 0
		.amdhsa_user_sgpr_kernarg_preload_length 0
		.amdhsa_user_sgpr_kernarg_preload_offset 0
		.amdhsa_user_sgpr_private_segment_size 0
		.amdhsa_wavefront_size32 1
		.amdhsa_uses_dynamic_stack 0
		.amdhsa_enable_private_segment 0
		.amdhsa_system_sgpr_workgroup_id_x 1
		.amdhsa_system_sgpr_workgroup_id_y 0
		.amdhsa_system_sgpr_workgroup_id_z 0
		.amdhsa_system_sgpr_workgroup_info 0
		.amdhsa_system_vgpr_workitem_id 0
		.amdhsa_next_free_vgpr 34
		.amdhsa_next_free_sgpr 24
		.amdhsa_named_barrier_count 0
		.amdhsa_reserve_vcc 1
		.amdhsa_float_round_mode_32 0
		.amdhsa_float_round_mode_16_64 0
		.amdhsa_float_denorm_mode_32 3
		.amdhsa_float_denorm_mode_16_64 3
		.amdhsa_fp16_overflow 0
		.amdhsa_memory_ordered 1
		.amdhsa_forward_progress 1
		.amdhsa_inst_pref_size 26
		.amdhsa_round_robin_scheduling 0
		.amdhsa_exception_fp_ieee_invalid_op 0
		.amdhsa_exception_fp_denorm_src 0
		.amdhsa_exception_fp_ieee_div_zero 0
		.amdhsa_exception_fp_ieee_overflow 0
		.amdhsa_exception_fp_ieee_underflow 0
		.amdhsa_exception_fp_ieee_inexact 0
		.amdhsa_exception_int_div_zero 0
	.end_amdhsa_kernel
	.section	.text._Z11fill_kernelI12hipblaslt_f8Z21hipblaslt_init_deviceIS0_Ev8ABC_dims24hipblaslt_initializationbPT_mmmmmEUlmE3_EvS5_mmT0_,"axG",@progbits,_Z11fill_kernelI12hipblaslt_f8Z21hipblaslt_init_deviceIS0_Ev8ABC_dims24hipblaslt_initializationbPT_mmmmmEUlmE3_EvS5_mmT0_,comdat
.Lfunc_end70:
	.size	_Z11fill_kernelI12hipblaslt_f8Z21hipblaslt_init_deviceIS0_Ev8ABC_dims24hipblaslt_initializationbPT_mmmmmEUlmE3_EvS5_mmT0_, .Lfunc_end70-_Z11fill_kernelI12hipblaslt_f8Z21hipblaslt_init_deviceIS0_Ev8ABC_dims24hipblaslt_initializationbPT_mmmmmEUlmE3_EvS5_mmT0_
                                        ; -- End function
	.set _Z11fill_kernelI12hipblaslt_f8Z21hipblaslt_init_deviceIS0_Ev8ABC_dims24hipblaslt_initializationbPT_mmmmmEUlmE3_EvS5_mmT0_.num_vgpr, 34
	.set _Z11fill_kernelI12hipblaslt_f8Z21hipblaslt_init_deviceIS0_Ev8ABC_dims24hipblaslt_initializationbPT_mmmmmEUlmE3_EvS5_mmT0_.num_agpr, 0
	.set _Z11fill_kernelI12hipblaslt_f8Z21hipblaslt_init_deviceIS0_Ev8ABC_dims24hipblaslt_initializationbPT_mmmmmEUlmE3_EvS5_mmT0_.numbered_sgpr, 24
	.set _Z11fill_kernelI12hipblaslt_f8Z21hipblaslt_init_deviceIS0_Ev8ABC_dims24hipblaslt_initializationbPT_mmmmmEUlmE3_EvS5_mmT0_.num_named_barrier, 0
	.set _Z11fill_kernelI12hipblaslt_f8Z21hipblaslt_init_deviceIS0_Ev8ABC_dims24hipblaslt_initializationbPT_mmmmmEUlmE3_EvS5_mmT0_.private_seg_size, 0
	.set _Z11fill_kernelI12hipblaslt_f8Z21hipblaslt_init_deviceIS0_Ev8ABC_dims24hipblaslt_initializationbPT_mmmmmEUlmE3_EvS5_mmT0_.uses_vcc, 1
	.set _Z11fill_kernelI12hipblaslt_f8Z21hipblaslt_init_deviceIS0_Ev8ABC_dims24hipblaslt_initializationbPT_mmmmmEUlmE3_EvS5_mmT0_.uses_flat_scratch, 0
	.set _Z11fill_kernelI12hipblaslt_f8Z21hipblaslt_init_deviceIS0_Ev8ABC_dims24hipblaslt_initializationbPT_mmmmmEUlmE3_EvS5_mmT0_.has_dyn_sized_stack, 0
	.set _Z11fill_kernelI12hipblaslt_f8Z21hipblaslt_init_deviceIS0_Ev8ABC_dims24hipblaslt_initializationbPT_mmmmmEUlmE3_EvS5_mmT0_.has_recursion, 0
	.set _Z11fill_kernelI12hipblaslt_f8Z21hipblaslt_init_deviceIS0_Ev8ABC_dims24hipblaslt_initializationbPT_mmmmmEUlmE3_EvS5_mmT0_.has_indirect_call, 0
	.section	.AMDGPU.csdata,"",@progbits
; Kernel info:
; codeLenInByte = 3320
; TotalNumSgprs: 26
; NumVgprs: 34
; ScratchSize: 0
; MemoryBound: 0
; FloatMode: 240
; IeeeMode: 1
; LDSByteSize: 0 bytes/workgroup (compile time only)
; SGPRBlocks: 0
; VGPRBlocks: 2
; NumSGPRsForWavesPerEU: 26
; NumVGPRsForWavesPerEU: 34
; NamedBarCnt: 0
; Occupancy: 16
; WaveLimiterHint : 0
; COMPUTE_PGM_RSRC2:SCRATCH_EN: 0
; COMPUTE_PGM_RSRC2:USER_SGPR: 2
; COMPUTE_PGM_RSRC2:TRAP_HANDLER: 0
; COMPUTE_PGM_RSRC2:TGID_X_EN: 1
; COMPUTE_PGM_RSRC2:TGID_Y_EN: 0
; COMPUTE_PGM_RSRC2:TGID_Z_EN: 0
; COMPUTE_PGM_RSRC2:TIDIG_COMP_CNT: 0
	.section	.text._Z11fill_kernelI12hipblaslt_f8Z21hipblaslt_init_deviceIS0_Ev8ABC_dims24hipblaslt_initializationbPT_mmmmmEUlmE4_EvS5_mmT0_,"axG",@progbits,_Z11fill_kernelI12hipblaslt_f8Z21hipblaslt_init_deviceIS0_Ev8ABC_dims24hipblaslt_initializationbPT_mmmmmEUlmE4_EvS5_mmT0_,comdat
	.protected	_Z11fill_kernelI12hipblaslt_f8Z21hipblaslt_init_deviceIS0_Ev8ABC_dims24hipblaslt_initializationbPT_mmmmmEUlmE4_EvS5_mmT0_ ; -- Begin function _Z11fill_kernelI12hipblaslt_f8Z21hipblaslt_init_deviceIS0_Ev8ABC_dims24hipblaslt_initializationbPT_mmmmmEUlmE4_EvS5_mmT0_
	.globl	_Z11fill_kernelI12hipblaslt_f8Z21hipblaslt_init_deviceIS0_Ev8ABC_dims24hipblaslt_initializationbPT_mmmmmEUlmE4_EvS5_mmT0_
	.p2align	8
	.type	_Z11fill_kernelI12hipblaslt_f8Z21hipblaslt_init_deviceIS0_Ev8ABC_dims24hipblaslt_initializationbPT_mmmmmEUlmE4_EvS5_mmT0_,@function
_Z11fill_kernelI12hipblaslt_f8Z21hipblaslt_init_deviceIS0_Ev8ABC_dims24hipblaslt_initializationbPT_mmmmmEUlmE4_EvS5_mmT0_: ; @_Z11fill_kernelI12hipblaslt_f8Z21hipblaslt_init_deviceIS0_Ev8ABC_dims24hipblaslt_initializationbPT_mmmmmEUlmE4_EvS5_mmT0_
; %bb.0:
	s_clause 0x1
	s_load_b32 s2, s[0:1], 0x2c
	s_load_b128 s[4:7], s[0:1], 0x0
	s_bfe_u32 s3, ttmp6, 0x4000c
	s_and_b32 s8, ttmp6, 15
	s_add_co_i32 s3, s3, 1
	s_getreg_b32 s9, hwreg(HW_REG_IB_STS2, 6, 4)
	s_mul_i32 s3, ttmp9, s3
	v_mov_b32_e32 v3, 0
	s_add_co_i32 s8, s8, s3
	s_wait_kmcnt 0x0
	s_and_b32 s2, s2, 0xffff
	s_cmp_eq_u32 s9, 0
	s_cselect_b32 s3, ttmp9, s8
	s_delay_alu instid0(SALU_CYCLE_1) | instskip(SKIP_1) | instid1(VALU_DEP_1)
	v_mad_u32 v2, s3, s2, v0
	s_mov_b32 s2, exec_lo
	v_cmpx_gt_u64_e64 s[6:7], v[2:3]
	s_cbranch_execz .LBB71_18
; %bb.1:
	s_load_b64 s[0:1], s[0:1], 0x10
	s_wait_kmcnt 0x0
	v_add_nc_u64_e32 v[0:1], s[0:1], v[2:3]
	s_mov_b32 s0, 0x19660d
	s_delay_alu instid0(VALU_DEP_1) | instid1(SALU_CYCLE_1)
	v_mad_nc_u64_u32 v[4:5], v0, s0, 0x3c6ef35f
	s_mov_b64 s[0:1], 0x41efffffffe00000
	s_delay_alu instid0(VALU_DEP_1) | instskip(NEXT) | instid1(VALU_DEP_1)
	v_mad_u32 v5, 0x19660d, v1, v5
	v_lshlrev_b64_e32 v[6:7], 13, v[4:5]
	s_delay_alu instid0(VALU_DEP_1) | instskip(NEXT) | instid1(VALU_DEP_2)
	v_xor_b32_e32 v5, v7, v5
	v_xor_b32_e32 v4, v6, v4
	s_delay_alu instid0(VALU_DEP_1) | instskip(NEXT) | instid1(VALU_DEP_1)
	v_lshrrev_b64 v[6:7], 17, v[4:5]
	v_xor_b32_e32 v5, v7, v5
	s_delay_alu instid0(VALU_DEP_2) | instskip(NEXT) | instid1(VALU_DEP_1)
	v_xor_b32_e32 v4, v6, v4
	v_lshlrev_b64_e32 v[6:7], 5, v[4:5]
	s_delay_alu instid0(VALU_DEP_1) | instskip(NEXT) | instid1(VALU_DEP_2)
	v_xor_b32_e32 v5, v7, v5
	v_xor_b32_e32 v4, v6, v4
	s_delay_alu instid0(VALU_DEP_1) | instskip(NEXT) | instid1(VALU_DEP_1)
	v_lshlrev_b64_e32 v[6:7], 13, v[4:5]
	v_xor_b32_e32 v5, v7, v5
	s_delay_alu instid0(VALU_DEP_2) | instskip(NEXT) | instid1(VALU_DEP_1)
	v_xor_b32_e32 v4, v6, v4
	v_lshrrev_b64 v[6:7], 17, v[4:5]
	s_delay_alu instid0(VALU_DEP_1) | instskip(NEXT) | instid1(VALU_DEP_2)
	v_xor_b32_e32 v5, v7, v5
	v_xor_b32_e32 v4, v6, v4
	s_delay_alu instid0(VALU_DEP_1) | instskip(NEXT) | instid1(VALU_DEP_1)
	v_lshlrev_b64_e32 v[6:7], 5, v[4:5]
	v_xor_b32_e32 v5, v7, v5
	s_delay_alu instid0(VALU_DEP_2) | instskip(NEXT) | instid1(VALU_DEP_1)
	v_xor_b32_e32 v4, v6, v4
	v_lshlrev_b64_e32 v[6:7], 13, v[4:5]
	s_delay_alu instid0(VALU_DEP_1) | instskip(NEXT) | instid1(VALU_DEP_2)
	v_xor_b32_e32 v2, v7, v5
	v_xor_b32_e32 v4, v6, v4
	s_delay_alu instid0(VALU_DEP_1) | instskip(NEXT) | instid1(VALU_DEP_1)
	v_alignbit_b32 v2, v2, v4, 17
	v_xor_b32_e32 v2, v2, v4
	s_delay_alu instid0(VALU_DEP_1) | instskip(NEXT) | instid1(VALU_DEP_1)
	v_lshlrev_b32_e32 v4, 5, v2
	v_xor_b32_e32 v2, v4, v2
	s_delay_alu instid0(VALU_DEP_1) | instskip(NEXT) | instid1(VALU_DEP_1)
	v_cvt_f64_u32_e32 v[4:5], v2
	v_div_scale_f64 v[6:7], null, s[0:1], s[0:1], v[4:5]
	v_div_scale_f64 v[12:13], vcc_lo, v[4:5], s[0:1], v[4:5]
	s_delay_alu instid0(VALU_DEP_2) | instskip(SKIP_1) | instid1(TRANS32_DEP_1)
	v_rcp_f64_e32 v[8:9], v[6:7]
	v_nop
	v_fma_f64 v[10:11], -v[6:7], v[8:9], 1.0
	s_delay_alu instid0(VALU_DEP_1) | instskip(NEXT) | instid1(VALU_DEP_1)
	v_fmac_f64_e32 v[8:9], v[8:9], v[10:11]
	v_fma_f64 v[10:11], -v[6:7], v[8:9], 1.0
	s_delay_alu instid0(VALU_DEP_1) | instskip(NEXT) | instid1(VALU_DEP_1)
	v_fmac_f64_e32 v[8:9], v[8:9], v[10:11]
	v_mul_f64_e32 v[10:11], v[12:13], v[8:9]
	s_delay_alu instid0(VALU_DEP_1) | instskip(NEXT) | instid1(VALU_DEP_1)
	v_fma_f64 v[6:7], -v[6:7], v[10:11], v[12:13]
	v_div_fmas_f64 v[6:7], v[6:7], v[8:9], v[10:11]
	s_delay_alu instid0(VALU_DEP_1) | instskip(SKIP_2) | instid1(VALU_DEP_2)
	v_div_fixup_f64 v[4:5], v[6:7], s[0:1], v[4:5]
	v_mov_b32_e32 v6, v3
	s_mov_b64 s[0:1], 0x7ff0000000000000
	v_add_f64_e32 v[4:5], -0.5, v[4:5]
	s_delay_alu instid0(VALU_DEP_1) | instskip(SKIP_1) | instid1(VALU_DEP_2)
	v_and_b32_e32 v7, 0x7ff00000, v5
	v_lshrrev_b32_e32 v3, 24, v5
	v_cmp_ne_u64_e32 vcc_lo, s[0:1], v[6:7]
	s_and_saveexec_b32 s0, vcc_lo
	s_delay_alu instid0(SALU_CYCLE_1)
	s_xor_b32 s2, exec_lo, s0
	s_cbranch_execz .LBB71_17
; %bb.2:
	v_and_b32_e32 v7, 0x7fffffff, v5
	v_mov_b32_e32 v6, v4
	s_mov_b64 s[0:1], 0x407c000000000001
	v_and_b32_e32 v8, 0x80, v3
                                        ; implicit-def: $vgpr3
	s_delay_alu instid0(VALU_DEP_2) | instskip(SKIP_1) | instid1(SALU_CYCLE_1)
	v_cmp_gt_u64_e32 vcc_lo, s[0:1], v[6:7]
	s_and_saveexec_b32 s0, vcc_lo
	s_xor_b32 s3, exec_lo, s0
	s_cbranch_execz .LBB71_14
; %bb.3:
	v_mov_b32_e32 v3, 0
	s_mov_b32 s6, exec_lo
	v_cmpx_ne_u64_e32 0, v[4:5]
	s_cbranch_execz .LBB71_13
; %bb.4:
	v_bfe_u32 v9, v5, 20, 11
	v_and_b32_e32 v2, 0xfffff, v5
	s_mov_b32 s7, 0
	s_delay_alu instid0(VALU_DEP_2) | instskip(SKIP_1) | instid1(VALU_DEP_3)
	v_sub_nc_u32_e64 v3, 0x3f9, v9 clamp
	v_cmp_eq_u32_e32 vcc_lo, 0, v9
	v_or_b32_e32 v5, 0x100000, v2
	s_delay_alu instid0(VALU_DEP_3) | instskip(NEXT) | instid1(VALU_DEP_2)
	v_cndmask_b32_e64 v14, v3, 0x3f8, vcc_lo
	v_cndmask_b32_e32 v5, v5, v2, vcc_lo
	s_delay_alu instid0(VALU_DEP_2) | instskip(NEXT) | instid1(VALU_DEP_1)
	v_dual_add_nc_u32 v6, 49, v14 :: v_dual_add_nc_u32 v7, 48, v14
	v_lshlrev_b64_e64 v[10:11], v6, -1
	v_mov_b32_e32 v6, 0
	s_delay_alu instid0(VALU_DEP_4) | instskip(NEXT) | instid1(VALU_DEP_4)
	v_lshrrev_b64 v[2:3], v14, v[4:5]
	v_lshlrev_b64_e64 v[12:13], v7, 1
	s_delay_alu instid0(VALU_DEP_4) | instskip(SKIP_1) | instid1(VALU_DEP_4)
	v_bfi_b32 v5, v11, 0, v5
	v_bfi_b32 v4, v10, 0, v4
	v_and_b32_e32 v7, 0x20000, v3
	s_delay_alu instid0(VALU_DEP_2) | instskip(NEXT) | instid1(VALU_DEP_2)
	v_cmp_eq_u64_e64 s1, v[4:5], v[12:13]
	v_cmp_eq_u64_e64 s0, 0, v[6:7]
	v_mov_b32_e32 v5, s7
	v_add_nc_u32_e32 v7, 0xfffffc08, v9
	v_lshrrev_b32_e32 v9, 20, v3
	s_and_b32 s0, s0, s1
	s_delay_alu instid0(VALU_DEP_2) | instskip(SKIP_2) | instid1(VALU_DEP_1)
	v_cndmask_b32_e64 v7, v7, 0xfffffc09, vcc_lo
	v_cndmask_b32_e64 v4, 0, 1, s0
	s_mov_b32 s0, exec_lo
	v_sub_nc_u64_e32 v[10:11], v[2:3], v[4:5]
	s_delay_alu instid0(VALU_DEP_3) | instskip(NEXT) | instid1(VALU_DEP_1)
	v_add3_u32 v5, v7, v14, v9
                                        ; implicit-def: $vgpr4
	v_add_nc_u32_e32 v9, -1, v5
	s_delay_alu instid0(VALU_DEP_3) | instskip(NEXT) | instid1(VALU_DEP_1)
	v_and_b32_e32 v11, 0x1ffff, v11
	v_add_nc_u64_e32 v[2:3], v[10:11], v[2:3]
	s_delay_alu instid0(VALU_DEP_3)
	v_cmpx_ne_u32_e32 0, v9
	s_xor_b32 s0, exec_lo, s0
; %bb.5:
	s_delay_alu instid0(VALU_DEP_2) | instskip(SKIP_1) | instid1(VALU_DEP_2)
	v_and_b32_e32 v7, 0x200000, v3
	v_bfe_u32 v4, v3, 21, 1
	v_cmp_eq_u64_e32 vcc_lo, 0, v[6:7]
	s_delay_alu instid0(VALU_DEP_2)
	v_lshrrev_b64 v[2:3], v4, v[2:3]
	v_cndmask_b32_e32 v4, v5, v9, vcc_lo
; %bb.6:
	s_and_not1_saveexec_b32 s0, s0
; %bb.7:
	s_delay_alu instid0(VALU_DEP_2)
	v_bfe_u32 v4, v3, 20, 1
; %bb.8:
	s_or_b32 exec_lo, exec_lo, s0
	v_dual_mov_b32 v3, 0 :: v_dual_lshrrev_b32 v2, 17, v3
	s_delay_alu instid0(VALU_DEP_2) | instskip(SKIP_1) | instid1(VALU_DEP_3)
	v_cmp_gt_i32_e32 vcc_lo, 16, v4
	v_cmp_ne_u32_e64 s0, 0, v4
	v_cndmask_b32_e32 v2, 7, v2, vcc_lo
	s_delay_alu instid0(VALU_DEP_1) | instskip(SKIP_1) | instid1(SALU_CYCLE_1)
	v_cmp_ne_u64_e32 vcc_lo, 0, v[2:3]
                                        ; implicit-def: $vgpr3
	s_or_b32 s0, s0, vcc_lo
	s_and_saveexec_b32 s1, s0
	s_delay_alu instid0(SALU_CYCLE_1)
	s_xor_b32 s0, exec_lo, s1
; %bb.9:
	v_min_i32_e32 v3, 15, v4
	s_delay_alu instid0(VALU_DEP_1) | instskip(NEXT) | instid1(VALU_DEP_1)
	v_lshl_or_b32 v3, v3, 3, v8
                                        ; implicit-def: $vgpr8
	v_and_or_b32 v3, v2, 7, v3
; %bb.10:
	s_and_not1_saveexec_b32 s0, s0
; %bb.11:
	v_mov_b32_e32 v3, v8
; %bb.12:
	s_or_b32 exec_lo, exec_lo, s0
.LBB71_13:
	s_delay_alu instid0(SALU_CYCLE_1)
	s_or_b32 exec_lo, exec_lo, s6
                                        ; implicit-def: $vgpr8
.LBB71_14:
	s_and_not1_saveexec_b32 s0, s3
; %bb.15:
	v_or_b32_e32 v3, 0x7e, v8
; %bb.16:
	s_or_b32 exec_lo, exec_lo, s0
.LBB71_17:
	s_and_not1_saveexec_b32 s0, s2
	s_delay_alu instid0(SALU_CYCLE_1)
	s_or_b32 exec_lo, exec_lo, s0
	v_add_nc_u64_e32 v[0:1], s[4:5], v[0:1]
	global_store_b8 v[0:1], v3, off
.LBB71_18:
	s_endpgm
	.section	.rodata,"a",@progbits
	.p2align	6, 0x0
	.amdhsa_kernel _Z11fill_kernelI12hipblaslt_f8Z21hipblaslt_init_deviceIS0_Ev8ABC_dims24hipblaslt_initializationbPT_mmmmmEUlmE4_EvS5_mmT0_
		.amdhsa_group_segment_fixed_size 0
		.amdhsa_private_segment_fixed_size 0
		.amdhsa_kernarg_size 288
		.amdhsa_user_sgpr_count 2
		.amdhsa_user_sgpr_dispatch_ptr 0
		.amdhsa_user_sgpr_queue_ptr 0
		.amdhsa_user_sgpr_kernarg_segment_ptr 1
		.amdhsa_user_sgpr_dispatch_id 0
		.amdhsa_user_sgpr_kernarg_preload_length 0
		.amdhsa_user_sgpr_kernarg_preload_offset 0
		.amdhsa_user_sgpr_private_segment_size 0
		.amdhsa_wavefront_size32 1
		.amdhsa_uses_dynamic_stack 0
		.amdhsa_enable_private_segment 0
		.amdhsa_system_sgpr_workgroup_id_x 1
		.amdhsa_system_sgpr_workgroup_id_y 0
		.amdhsa_system_sgpr_workgroup_id_z 0
		.amdhsa_system_sgpr_workgroup_info 0
		.amdhsa_system_vgpr_workitem_id 0
		.amdhsa_next_free_vgpr 15
		.amdhsa_next_free_sgpr 10
		.amdhsa_named_barrier_count 0
		.amdhsa_reserve_vcc 1
		.amdhsa_float_round_mode_32 0
		.amdhsa_float_round_mode_16_64 0
		.amdhsa_float_denorm_mode_32 3
		.amdhsa_float_denorm_mode_16_64 3
		.amdhsa_fp16_overflow 0
		.amdhsa_memory_ordered 1
		.amdhsa_forward_progress 1
		.amdhsa_inst_pref_size 8
		.amdhsa_round_robin_scheduling 0
		.amdhsa_exception_fp_ieee_invalid_op 0
		.amdhsa_exception_fp_denorm_src 0
		.amdhsa_exception_fp_ieee_div_zero 0
		.amdhsa_exception_fp_ieee_overflow 0
		.amdhsa_exception_fp_ieee_underflow 0
		.amdhsa_exception_fp_ieee_inexact 0
		.amdhsa_exception_int_div_zero 0
	.end_amdhsa_kernel
	.section	.text._Z11fill_kernelI12hipblaslt_f8Z21hipblaslt_init_deviceIS0_Ev8ABC_dims24hipblaslt_initializationbPT_mmmmmEUlmE4_EvS5_mmT0_,"axG",@progbits,_Z11fill_kernelI12hipblaslt_f8Z21hipblaslt_init_deviceIS0_Ev8ABC_dims24hipblaslt_initializationbPT_mmmmmEUlmE4_EvS5_mmT0_,comdat
.Lfunc_end71:
	.size	_Z11fill_kernelI12hipblaslt_f8Z21hipblaslt_init_deviceIS0_Ev8ABC_dims24hipblaslt_initializationbPT_mmmmmEUlmE4_EvS5_mmT0_, .Lfunc_end71-_Z11fill_kernelI12hipblaslt_f8Z21hipblaslt_init_deviceIS0_Ev8ABC_dims24hipblaslt_initializationbPT_mmmmmEUlmE4_EvS5_mmT0_
                                        ; -- End function
	.set _Z11fill_kernelI12hipblaslt_f8Z21hipblaslt_init_deviceIS0_Ev8ABC_dims24hipblaslt_initializationbPT_mmmmmEUlmE4_EvS5_mmT0_.num_vgpr, 15
	.set _Z11fill_kernelI12hipblaslt_f8Z21hipblaslt_init_deviceIS0_Ev8ABC_dims24hipblaslt_initializationbPT_mmmmmEUlmE4_EvS5_mmT0_.num_agpr, 0
	.set _Z11fill_kernelI12hipblaslt_f8Z21hipblaslt_init_deviceIS0_Ev8ABC_dims24hipblaslt_initializationbPT_mmmmmEUlmE4_EvS5_mmT0_.numbered_sgpr, 10
	.set _Z11fill_kernelI12hipblaslt_f8Z21hipblaslt_init_deviceIS0_Ev8ABC_dims24hipblaslt_initializationbPT_mmmmmEUlmE4_EvS5_mmT0_.num_named_barrier, 0
	.set _Z11fill_kernelI12hipblaslt_f8Z21hipblaslt_init_deviceIS0_Ev8ABC_dims24hipblaslt_initializationbPT_mmmmmEUlmE4_EvS5_mmT0_.private_seg_size, 0
	.set _Z11fill_kernelI12hipblaslt_f8Z21hipblaslt_init_deviceIS0_Ev8ABC_dims24hipblaslt_initializationbPT_mmmmmEUlmE4_EvS5_mmT0_.uses_vcc, 1
	.set _Z11fill_kernelI12hipblaslt_f8Z21hipblaslt_init_deviceIS0_Ev8ABC_dims24hipblaslt_initializationbPT_mmmmmEUlmE4_EvS5_mmT0_.uses_flat_scratch, 0
	.set _Z11fill_kernelI12hipblaslt_f8Z21hipblaslt_init_deviceIS0_Ev8ABC_dims24hipblaslt_initializationbPT_mmmmmEUlmE4_EvS5_mmT0_.has_dyn_sized_stack, 0
	.set _Z11fill_kernelI12hipblaslt_f8Z21hipblaslt_init_deviceIS0_Ev8ABC_dims24hipblaslt_initializationbPT_mmmmmEUlmE4_EvS5_mmT0_.has_recursion, 0
	.set _Z11fill_kernelI12hipblaslt_f8Z21hipblaslt_init_deviceIS0_Ev8ABC_dims24hipblaslt_initializationbPT_mmmmmEUlmE4_EvS5_mmT0_.has_indirect_call, 0
	.section	.AMDGPU.csdata,"",@progbits
; Kernel info:
; codeLenInByte = 1020
; TotalNumSgprs: 12
; NumVgprs: 15
; ScratchSize: 0
; MemoryBound: 0
; FloatMode: 240
; IeeeMode: 1
; LDSByteSize: 0 bytes/workgroup (compile time only)
; SGPRBlocks: 0
; VGPRBlocks: 0
; NumSGPRsForWavesPerEU: 12
; NumVGPRsForWavesPerEU: 15
; NamedBarCnt: 0
; Occupancy: 16
; WaveLimiterHint : 0
; COMPUTE_PGM_RSRC2:SCRATCH_EN: 0
; COMPUTE_PGM_RSRC2:USER_SGPR: 2
; COMPUTE_PGM_RSRC2:TRAP_HANDLER: 0
; COMPUTE_PGM_RSRC2:TGID_X_EN: 1
; COMPUTE_PGM_RSRC2:TGID_Y_EN: 0
; COMPUTE_PGM_RSRC2:TGID_Z_EN: 0
; COMPUTE_PGM_RSRC2:TIDIG_COMP_CNT: 0
	.section	.text._Z11fill_kernelI12hipblaslt_f8Z21hipblaslt_init_deviceIS0_Ev8ABC_dims24hipblaslt_initializationbPT_mmmmmEUlmE5_EvS5_mmT0_,"axG",@progbits,_Z11fill_kernelI12hipblaslt_f8Z21hipblaslt_init_deviceIS0_Ev8ABC_dims24hipblaslt_initializationbPT_mmmmmEUlmE5_EvS5_mmT0_,comdat
	.protected	_Z11fill_kernelI12hipblaslt_f8Z21hipblaslt_init_deviceIS0_Ev8ABC_dims24hipblaslt_initializationbPT_mmmmmEUlmE5_EvS5_mmT0_ ; -- Begin function _Z11fill_kernelI12hipblaslt_f8Z21hipblaslt_init_deviceIS0_Ev8ABC_dims24hipblaslt_initializationbPT_mmmmmEUlmE5_EvS5_mmT0_
	.globl	_Z11fill_kernelI12hipblaslt_f8Z21hipblaslt_init_deviceIS0_Ev8ABC_dims24hipblaslt_initializationbPT_mmmmmEUlmE5_EvS5_mmT0_
	.p2align	8
	.type	_Z11fill_kernelI12hipblaslt_f8Z21hipblaslt_init_deviceIS0_Ev8ABC_dims24hipblaslt_initializationbPT_mmmmmEUlmE5_EvS5_mmT0_,@function
_Z11fill_kernelI12hipblaslt_f8Z21hipblaslt_init_deviceIS0_Ev8ABC_dims24hipblaslt_initializationbPT_mmmmmEUlmE5_EvS5_mmT0_: ; @_Z11fill_kernelI12hipblaslt_f8Z21hipblaslt_init_deviceIS0_Ev8ABC_dims24hipblaslt_initializationbPT_mmmmmEUlmE5_EvS5_mmT0_
; %bb.0:
	s_clause 0x1
	s_load_b32 s2, s[0:1], 0x2c
	s_load_b128 s[4:7], s[0:1], 0x0
	s_bfe_u32 s3, ttmp6, 0x4000c
	s_and_b32 s8, ttmp6, 15
	s_add_co_i32 s3, s3, 1
	s_getreg_b32 s9, hwreg(HW_REG_IB_STS2, 6, 4)
	s_mul_i32 s3, ttmp9, s3
	v_mov_b32_e32 v1, 0
	s_add_co_i32 s8, s8, s3
	s_wait_kmcnt 0x0
	s_and_b32 s2, s2, 0xffff
	s_cmp_eq_u32 s9, 0
	s_cselect_b32 s3, ttmp9, s8
	s_delay_alu instid0(SALU_CYCLE_1) | instskip(SKIP_1) | instid1(VALU_DEP_1)
	v_mad_u32 v0, s3, s2, v0
	s_mov_b32 s2, exec_lo
	v_cmpx_gt_u64_e64 s[6:7], v[0:1]
	s_cbranch_execz .LBB72_2
; %bb.1:
	s_load_b64 s[0:1], s[0:1], 0x10
	v_mov_b32_e32 v2, 0x7e
	s_wait_kmcnt 0x0
	s_add_nc_u64 s[0:1], s[4:5], s[0:1]
	s_delay_alu instid0(SALU_CYCLE_1)
	v_add_nc_u64_e32 v[0:1], s[0:1], v[0:1]
	global_store_b8 v[0:1], v2, off
.LBB72_2:
	s_endpgm
	.section	.rodata,"a",@progbits
	.p2align	6, 0x0
	.amdhsa_kernel _Z11fill_kernelI12hipblaslt_f8Z21hipblaslt_init_deviceIS0_Ev8ABC_dims24hipblaslt_initializationbPT_mmmmmEUlmE5_EvS5_mmT0_
		.amdhsa_group_segment_fixed_size 0
		.amdhsa_private_segment_fixed_size 0
		.amdhsa_kernarg_size 288
		.amdhsa_user_sgpr_count 2
		.amdhsa_user_sgpr_dispatch_ptr 0
		.amdhsa_user_sgpr_queue_ptr 0
		.amdhsa_user_sgpr_kernarg_segment_ptr 1
		.amdhsa_user_sgpr_dispatch_id 0
		.amdhsa_user_sgpr_kernarg_preload_length 0
		.amdhsa_user_sgpr_kernarg_preload_offset 0
		.amdhsa_user_sgpr_private_segment_size 0
		.amdhsa_wavefront_size32 1
		.amdhsa_uses_dynamic_stack 0
		.amdhsa_enable_private_segment 0
		.amdhsa_system_sgpr_workgroup_id_x 1
		.amdhsa_system_sgpr_workgroup_id_y 0
		.amdhsa_system_sgpr_workgroup_id_z 0
		.amdhsa_system_sgpr_workgroup_info 0
		.amdhsa_system_vgpr_workitem_id 0
		.amdhsa_next_free_vgpr 3
		.amdhsa_next_free_sgpr 10
		.amdhsa_named_barrier_count 0
		.amdhsa_reserve_vcc 0
		.amdhsa_float_round_mode_32 0
		.amdhsa_float_round_mode_16_64 0
		.amdhsa_float_denorm_mode_32 3
		.amdhsa_float_denorm_mode_16_64 3
		.amdhsa_fp16_overflow 0
		.amdhsa_memory_ordered 1
		.amdhsa_forward_progress 1
		.amdhsa_inst_pref_size 2
		.amdhsa_round_robin_scheduling 0
		.amdhsa_exception_fp_ieee_invalid_op 0
		.amdhsa_exception_fp_denorm_src 0
		.amdhsa_exception_fp_ieee_div_zero 0
		.amdhsa_exception_fp_ieee_overflow 0
		.amdhsa_exception_fp_ieee_underflow 0
		.amdhsa_exception_fp_ieee_inexact 0
		.amdhsa_exception_int_div_zero 0
	.end_amdhsa_kernel
	.section	.text._Z11fill_kernelI12hipblaslt_f8Z21hipblaslt_init_deviceIS0_Ev8ABC_dims24hipblaslt_initializationbPT_mmmmmEUlmE5_EvS5_mmT0_,"axG",@progbits,_Z11fill_kernelI12hipblaslt_f8Z21hipblaslt_init_deviceIS0_Ev8ABC_dims24hipblaslt_initializationbPT_mmmmmEUlmE5_EvS5_mmT0_,comdat
.Lfunc_end72:
	.size	_Z11fill_kernelI12hipblaslt_f8Z21hipblaslt_init_deviceIS0_Ev8ABC_dims24hipblaslt_initializationbPT_mmmmmEUlmE5_EvS5_mmT0_, .Lfunc_end72-_Z11fill_kernelI12hipblaslt_f8Z21hipblaslt_init_deviceIS0_Ev8ABC_dims24hipblaslt_initializationbPT_mmmmmEUlmE5_EvS5_mmT0_
                                        ; -- End function
	.set _Z11fill_kernelI12hipblaslt_f8Z21hipblaslt_init_deviceIS0_Ev8ABC_dims24hipblaslt_initializationbPT_mmmmmEUlmE5_EvS5_mmT0_.num_vgpr, 3
	.set _Z11fill_kernelI12hipblaslt_f8Z21hipblaslt_init_deviceIS0_Ev8ABC_dims24hipblaslt_initializationbPT_mmmmmEUlmE5_EvS5_mmT0_.num_agpr, 0
	.set _Z11fill_kernelI12hipblaslt_f8Z21hipblaslt_init_deviceIS0_Ev8ABC_dims24hipblaslt_initializationbPT_mmmmmEUlmE5_EvS5_mmT0_.numbered_sgpr, 10
	.set _Z11fill_kernelI12hipblaslt_f8Z21hipblaslt_init_deviceIS0_Ev8ABC_dims24hipblaslt_initializationbPT_mmmmmEUlmE5_EvS5_mmT0_.num_named_barrier, 0
	.set _Z11fill_kernelI12hipblaslt_f8Z21hipblaslt_init_deviceIS0_Ev8ABC_dims24hipblaslt_initializationbPT_mmmmmEUlmE5_EvS5_mmT0_.private_seg_size, 0
	.set _Z11fill_kernelI12hipblaslt_f8Z21hipblaslt_init_deviceIS0_Ev8ABC_dims24hipblaslt_initializationbPT_mmmmmEUlmE5_EvS5_mmT0_.uses_vcc, 0
	.set _Z11fill_kernelI12hipblaslt_f8Z21hipblaslt_init_deviceIS0_Ev8ABC_dims24hipblaslt_initializationbPT_mmmmmEUlmE5_EvS5_mmT0_.uses_flat_scratch, 0
	.set _Z11fill_kernelI12hipblaslt_f8Z21hipblaslt_init_deviceIS0_Ev8ABC_dims24hipblaslt_initializationbPT_mmmmmEUlmE5_EvS5_mmT0_.has_dyn_sized_stack, 0
	.set _Z11fill_kernelI12hipblaslt_f8Z21hipblaslt_init_deviceIS0_Ev8ABC_dims24hipblaslt_initializationbPT_mmmmmEUlmE5_EvS5_mmT0_.has_recursion, 0
	.set _Z11fill_kernelI12hipblaslt_f8Z21hipblaslt_init_deviceIS0_Ev8ABC_dims24hipblaslt_initializationbPT_mmmmmEUlmE5_EvS5_mmT0_.has_indirect_call, 0
	.section	.AMDGPU.csdata,"",@progbits
; Kernel info:
; codeLenInByte = 148
; TotalNumSgprs: 10
; NumVgprs: 3
; ScratchSize: 0
; MemoryBound: 0
; FloatMode: 240
; IeeeMode: 1
; LDSByteSize: 0 bytes/workgroup (compile time only)
; SGPRBlocks: 0
; VGPRBlocks: 0
; NumSGPRsForWavesPerEU: 10
; NumVGPRsForWavesPerEU: 3
; NamedBarCnt: 0
; Occupancy: 16
; WaveLimiterHint : 0
; COMPUTE_PGM_RSRC2:SCRATCH_EN: 0
; COMPUTE_PGM_RSRC2:USER_SGPR: 2
; COMPUTE_PGM_RSRC2:TRAP_HANDLER: 0
; COMPUTE_PGM_RSRC2:TGID_X_EN: 1
; COMPUTE_PGM_RSRC2:TGID_Y_EN: 0
; COMPUTE_PGM_RSRC2:TGID_Z_EN: 0
; COMPUTE_PGM_RSRC2:TIDIG_COMP_CNT: 0
	.section	.text._Z11fill_kernelI12hipblaslt_f8Z21hipblaslt_init_deviceIS0_Ev8ABC_dims24hipblaslt_initializationbPT_mmmmmEUlmE6_EvS5_mmT0_,"axG",@progbits,_Z11fill_kernelI12hipblaslt_f8Z21hipblaslt_init_deviceIS0_Ev8ABC_dims24hipblaslt_initializationbPT_mmmmmEUlmE6_EvS5_mmT0_,comdat
	.protected	_Z11fill_kernelI12hipblaslt_f8Z21hipblaslt_init_deviceIS0_Ev8ABC_dims24hipblaslt_initializationbPT_mmmmmEUlmE6_EvS5_mmT0_ ; -- Begin function _Z11fill_kernelI12hipblaslt_f8Z21hipblaslt_init_deviceIS0_Ev8ABC_dims24hipblaslt_initializationbPT_mmmmmEUlmE6_EvS5_mmT0_
	.globl	_Z11fill_kernelI12hipblaslt_f8Z21hipblaslt_init_deviceIS0_Ev8ABC_dims24hipblaslt_initializationbPT_mmmmmEUlmE6_EvS5_mmT0_
	.p2align	8
	.type	_Z11fill_kernelI12hipblaslt_f8Z21hipblaslt_init_deviceIS0_Ev8ABC_dims24hipblaslt_initializationbPT_mmmmmEUlmE6_EvS5_mmT0_,@function
_Z11fill_kernelI12hipblaslt_f8Z21hipblaslt_init_deviceIS0_Ev8ABC_dims24hipblaslt_initializationbPT_mmmmmEUlmE6_EvS5_mmT0_: ; @_Z11fill_kernelI12hipblaslt_f8Z21hipblaslt_init_deviceIS0_Ev8ABC_dims24hipblaslt_initializationbPT_mmmmmEUlmE6_EvS5_mmT0_
; %bb.0:
	s_clause 0x1
	s_load_b32 s2, s[0:1], 0x2c
	s_load_b128 s[4:7], s[0:1], 0x0
	s_bfe_u32 s3, ttmp6, 0x4000c
	s_and_b32 s8, ttmp6, 15
	s_add_co_i32 s3, s3, 1
	s_getreg_b32 s9, hwreg(HW_REG_IB_STS2, 6, 4)
	s_mul_i32 s3, ttmp9, s3
	v_mov_b32_e32 v1, 0
	s_add_co_i32 s8, s8, s3
	s_wait_kmcnt 0x0
	s_and_b32 s2, s2, 0xffff
	s_cmp_eq_u32 s9, 0
	s_cselect_b32 s3, ttmp9, s8
	s_delay_alu instid0(SALU_CYCLE_1) | instskip(SKIP_1) | instid1(VALU_DEP_1)
	v_mad_u32 v0, s3, s2, v0
	s_mov_b32 s2, exec_lo
	v_cmpx_gt_u64_e64 s[6:7], v[0:1]
	s_cbranch_execz .LBB73_2
; %bb.1:
	s_load_b64 s[0:1], s[0:1], 0x10
	s_wait_kmcnt 0x0
	s_add_nc_u64 s[0:1], s[4:5], s[0:1]
	s_delay_alu instid0(SALU_CYCLE_1)
	v_add_nc_u64_e32 v[2:3], s[0:1], v[0:1]
	global_store_b8 v[2:3], v1, off
.LBB73_2:
	s_endpgm
	.section	.rodata,"a",@progbits
	.p2align	6, 0x0
	.amdhsa_kernel _Z11fill_kernelI12hipblaslt_f8Z21hipblaslt_init_deviceIS0_Ev8ABC_dims24hipblaslt_initializationbPT_mmmmmEUlmE6_EvS5_mmT0_
		.amdhsa_group_segment_fixed_size 0
		.amdhsa_private_segment_fixed_size 0
		.amdhsa_kernarg_size 288
		.amdhsa_user_sgpr_count 2
		.amdhsa_user_sgpr_dispatch_ptr 0
		.amdhsa_user_sgpr_queue_ptr 0
		.amdhsa_user_sgpr_kernarg_segment_ptr 1
		.amdhsa_user_sgpr_dispatch_id 0
		.amdhsa_user_sgpr_kernarg_preload_length 0
		.amdhsa_user_sgpr_kernarg_preload_offset 0
		.amdhsa_user_sgpr_private_segment_size 0
		.amdhsa_wavefront_size32 1
		.amdhsa_uses_dynamic_stack 0
		.amdhsa_enable_private_segment 0
		.amdhsa_system_sgpr_workgroup_id_x 1
		.amdhsa_system_sgpr_workgroup_id_y 0
		.amdhsa_system_sgpr_workgroup_id_z 0
		.amdhsa_system_sgpr_workgroup_info 0
		.amdhsa_system_vgpr_workitem_id 0
		.amdhsa_next_free_vgpr 4
		.amdhsa_next_free_sgpr 10
		.amdhsa_named_barrier_count 0
		.amdhsa_reserve_vcc 0
		.amdhsa_float_round_mode_32 0
		.amdhsa_float_round_mode_16_64 0
		.amdhsa_float_denorm_mode_32 3
		.amdhsa_float_denorm_mode_16_64 3
		.amdhsa_fp16_overflow 0
		.amdhsa_memory_ordered 1
		.amdhsa_forward_progress 1
		.amdhsa_inst_pref_size 2
		.amdhsa_round_robin_scheduling 0
		.amdhsa_exception_fp_ieee_invalid_op 0
		.amdhsa_exception_fp_denorm_src 0
		.amdhsa_exception_fp_ieee_div_zero 0
		.amdhsa_exception_fp_ieee_overflow 0
		.amdhsa_exception_fp_ieee_underflow 0
		.amdhsa_exception_fp_ieee_inexact 0
		.amdhsa_exception_int_div_zero 0
	.end_amdhsa_kernel
	.section	.text._Z11fill_kernelI12hipblaslt_f8Z21hipblaslt_init_deviceIS0_Ev8ABC_dims24hipblaslt_initializationbPT_mmmmmEUlmE6_EvS5_mmT0_,"axG",@progbits,_Z11fill_kernelI12hipblaslt_f8Z21hipblaslt_init_deviceIS0_Ev8ABC_dims24hipblaslt_initializationbPT_mmmmmEUlmE6_EvS5_mmT0_,comdat
.Lfunc_end73:
	.size	_Z11fill_kernelI12hipblaslt_f8Z21hipblaslt_init_deviceIS0_Ev8ABC_dims24hipblaslt_initializationbPT_mmmmmEUlmE6_EvS5_mmT0_, .Lfunc_end73-_Z11fill_kernelI12hipblaslt_f8Z21hipblaslt_init_deviceIS0_Ev8ABC_dims24hipblaslt_initializationbPT_mmmmmEUlmE6_EvS5_mmT0_
                                        ; -- End function
	.set _Z11fill_kernelI12hipblaslt_f8Z21hipblaslt_init_deviceIS0_Ev8ABC_dims24hipblaslt_initializationbPT_mmmmmEUlmE6_EvS5_mmT0_.num_vgpr, 4
	.set _Z11fill_kernelI12hipblaslt_f8Z21hipblaslt_init_deviceIS0_Ev8ABC_dims24hipblaslt_initializationbPT_mmmmmEUlmE6_EvS5_mmT0_.num_agpr, 0
	.set _Z11fill_kernelI12hipblaslt_f8Z21hipblaslt_init_deviceIS0_Ev8ABC_dims24hipblaslt_initializationbPT_mmmmmEUlmE6_EvS5_mmT0_.numbered_sgpr, 10
	.set _Z11fill_kernelI12hipblaslt_f8Z21hipblaslt_init_deviceIS0_Ev8ABC_dims24hipblaslt_initializationbPT_mmmmmEUlmE6_EvS5_mmT0_.num_named_barrier, 0
	.set _Z11fill_kernelI12hipblaslt_f8Z21hipblaslt_init_deviceIS0_Ev8ABC_dims24hipblaslt_initializationbPT_mmmmmEUlmE6_EvS5_mmT0_.private_seg_size, 0
	.set _Z11fill_kernelI12hipblaslt_f8Z21hipblaslt_init_deviceIS0_Ev8ABC_dims24hipblaslt_initializationbPT_mmmmmEUlmE6_EvS5_mmT0_.uses_vcc, 0
	.set _Z11fill_kernelI12hipblaslt_f8Z21hipblaslt_init_deviceIS0_Ev8ABC_dims24hipblaslt_initializationbPT_mmmmmEUlmE6_EvS5_mmT0_.uses_flat_scratch, 0
	.set _Z11fill_kernelI12hipblaslt_f8Z21hipblaslt_init_deviceIS0_Ev8ABC_dims24hipblaslt_initializationbPT_mmmmmEUlmE6_EvS5_mmT0_.has_dyn_sized_stack, 0
	.set _Z11fill_kernelI12hipblaslt_f8Z21hipblaslt_init_deviceIS0_Ev8ABC_dims24hipblaslt_initializationbPT_mmmmmEUlmE6_EvS5_mmT0_.has_recursion, 0
	.set _Z11fill_kernelI12hipblaslt_f8Z21hipblaslt_init_deviceIS0_Ev8ABC_dims24hipblaslt_initializationbPT_mmmmmEUlmE6_EvS5_mmT0_.has_indirect_call, 0
	.section	.AMDGPU.csdata,"",@progbits
; Kernel info:
; codeLenInByte = 140
; TotalNumSgprs: 10
; NumVgprs: 4
; ScratchSize: 0
; MemoryBound: 0
; FloatMode: 240
; IeeeMode: 1
; LDSByteSize: 0 bytes/workgroup (compile time only)
; SGPRBlocks: 0
; VGPRBlocks: 0
; NumSGPRsForWavesPerEU: 10
; NumVGPRsForWavesPerEU: 4
; NamedBarCnt: 0
; Occupancy: 16
; WaveLimiterHint : 0
; COMPUTE_PGM_RSRC2:SCRATCH_EN: 0
; COMPUTE_PGM_RSRC2:USER_SGPR: 2
; COMPUTE_PGM_RSRC2:TRAP_HANDLER: 0
; COMPUTE_PGM_RSRC2:TGID_X_EN: 1
; COMPUTE_PGM_RSRC2:TGID_Y_EN: 0
; COMPUTE_PGM_RSRC2:TGID_Z_EN: 0
; COMPUTE_PGM_RSRC2:TIDIG_COMP_CNT: 0
	.section	.text._Z11fill_kernelI12hipblaslt_f8Z21hipblaslt_init_deviceIS0_Ev8ABC_dims24hipblaslt_initializationbPT_mmmmmEUlmE7_EvS5_mmT0_,"axG",@progbits,_Z11fill_kernelI12hipblaslt_f8Z21hipblaslt_init_deviceIS0_Ev8ABC_dims24hipblaslt_initializationbPT_mmmmmEUlmE7_EvS5_mmT0_,comdat
	.protected	_Z11fill_kernelI12hipblaslt_f8Z21hipblaslt_init_deviceIS0_Ev8ABC_dims24hipblaslt_initializationbPT_mmmmmEUlmE7_EvS5_mmT0_ ; -- Begin function _Z11fill_kernelI12hipblaslt_f8Z21hipblaslt_init_deviceIS0_Ev8ABC_dims24hipblaslt_initializationbPT_mmmmmEUlmE7_EvS5_mmT0_
	.globl	_Z11fill_kernelI12hipblaslt_f8Z21hipblaslt_init_deviceIS0_Ev8ABC_dims24hipblaslt_initializationbPT_mmmmmEUlmE7_EvS5_mmT0_
	.p2align	8
	.type	_Z11fill_kernelI12hipblaslt_f8Z21hipblaslt_init_deviceIS0_Ev8ABC_dims24hipblaslt_initializationbPT_mmmmmEUlmE7_EvS5_mmT0_,@function
_Z11fill_kernelI12hipblaslt_f8Z21hipblaslt_init_deviceIS0_Ev8ABC_dims24hipblaslt_initializationbPT_mmmmmEUlmE7_EvS5_mmT0_: ; @_Z11fill_kernelI12hipblaslt_f8Z21hipblaslt_init_deviceIS0_Ev8ABC_dims24hipblaslt_initializationbPT_mmmmmEUlmE7_EvS5_mmT0_
; %bb.0:
	s_clause 0x1
	s_load_b32 s2, s[0:1], 0x2c
	s_load_b128 s[4:7], s[0:1], 0x0
	s_bfe_u32 s3, ttmp6, 0x4000c
	s_and_b32 s8, ttmp6, 15
	s_add_co_i32 s3, s3, 1
	s_getreg_b32 s9, hwreg(HW_REG_IB_STS2, 6, 4)
	s_mul_i32 s3, ttmp9, s3
	v_mov_b32_e32 v3, 0
	s_add_co_i32 s8, s8, s3
	s_wait_kmcnt 0x0
	s_and_b32 s2, s2, 0xffff
	s_cmp_eq_u32 s9, 0
	s_cselect_b32 s3, ttmp9, s8
	s_delay_alu instid0(SALU_CYCLE_1) | instskip(SKIP_1) | instid1(VALU_DEP_1)
	v_mad_u32 v2, s3, s2, v0
	s_mov_b32 s2, exec_lo
	v_cmpx_gt_u64_e64 s[6:7], v[2:3]
	s_cbranch_execz .LBB74_10
; %bb.1:
	s_load_b64 s[0:1], s[0:1], 0x10
	s_wait_kmcnt 0x0
	v_add_nc_u64_e32 v[0:1], s[0:1], v[2:3]
	s_mov_b32 s0, 0x19660d
	s_delay_alu instid0(VALU_DEP_1) | instid1(SALU_CYCLE_1)
	v_mad_nc_u64_u32 v[4:5], v0, s0, 0x3c6ef35f
	s_delay_alu instid0(VALU_DEP_1) | instskip(NEXT) | instid1(VALU_DEP_1)
	v_mad_u32 v5, 0x19660d, v1, v5
	v_lshlrev_b64_e32 v[6:7], 13, v[4:5]
	s_delay_alu instid0(VALU_DEP_1) | instskip(NEXT) | instid1(VALU_DEP_2)
	v_xor_b32_e32 v5, v7, v5
	v_xor_b32_e32 v4, v6, v4
	s_delay_alu instid0(VALU_DEP_1) | instskip(NEXT) | instid1(VALU_DEP_1)
	v_lshrrev_b64 v[6:7], 17, v[4:5]
	v_xor_b32_e32 v5, v7, v5
	s_delay_alu instid0(VALU_DEP_2) | instskip(NEXT) | instid1(VALU_DEP_1)
	v_xor_b32_e32 v4, v6, v4
	v_lshlrev_b64_e32 v[6:7], 5, v[4:5]
	s_delay_alu instid0(VALU_DEP_1) | instskip(NEXT) | instid1(VALU_DEP_2)
	v_xor_b32_e32 v5, v7, v5
	v_xor_b32_e32 v4, v6, v4
	s_delay_alu instid0(VALU_DEP_1) | instskip(NEXT) | instid1(VALU_DEP_1)
	v_lshlrev_b64_e32 v[6:7], 13, v[4:5]
	v_xor_b32_e32 v5, v7, v5
	s_delay_alu instid0(VALU_DEP_2) | instskip(NEXT) | instid1(VALU_DEP_1)
	v_xor_b32_e32 v4, v6, v4
	v_lshrrev_b64 v[6:7], 17, v[4:5]
	s_delay_alu instid0(VALU_DEP_1) | instskip(NEXT) | instid1(VALU_DEP_2)
	v_xor_b32_e32 v5, v7, v5
	v_xor_b32_e32 v4, v6, v4
	s_delay_alu instid0(VALU_DEP_1) | instskip(NEXT) | instid1(VALU_DEP_1)
	v_lshlrev_b64_e32 v[6:7], 5, v[4:5]
	v_xor_b32_e32 v5, v7, v5
	s_delay_alu instid0(VALU_DEP_2) | instskip(NEXT) | instid1(VALU_DEP_1)
	v_xor_b32_e32 v4, v6, v4
	v_lshlrev_b64_e32 v[6:7], 13, v[4:5]
	s_delay_alu instid0(VALU_DEP_1) | instskip(NEXT) | instid1(VALU_DEP_2)
	v_xor_b32_e32 v2, v7, v5
	v_xor_b32_e32 v4, v6, v4
	s_delay_alu instid0(VALU_DEP_1) | instskip(NEXT) | instid1(VALU_DEP_1)
	v_alignbit_b32 v2, v2, v4, 17
	v_xor_b32_e32 v2, v2, v4
	s_delay_alu instid0(VALU_DEP_1) | instskip(NEXT) | instid1(VALU_DEP_1)
	v_lshlrev_b32_e32 v4, 5, v2
	v_xor_b32_e32 v2, v4, v2
	s_delay_alu instid0(VALU_DEP_1) | instskip(NEXT) | instid1(VALU_DEP_1)
	v_mul_hi_u32 v4, 0xcccccccd, v2
	v_lshrrev_b32_e32 v4, 3, v4
	s_delay_alu instid0(VALU_DEP_1) | instskip(NEXT) | instid1(VALU_DEP_1)
	v_mul_lo_u32 v4, v4, 10
	v_sub_nc_u32_e32 v2, v2, v4
	s_delay_alu instid0(VALU_DEP_1) | instskip(NEXT) | instid1(VALU_DEP_1)
	v_add_nc_u32_e32 v2, 1, v2
	v_cvt_f32_u32_e32 v4, v2
	s_delay_alu instid0(VALU_DEP_1) | instskip(NEXT) | instid1(VALU_DEP_1)
	v_and_b32_e32 v2, 0x7f800000, v4
	v_cmp_ne_u64_e32 vcc_lo, 0x7f800000, v[2:3]
	v_mov_b32_e32 v2, 0x7f
	s_and_saveexec_b32 s2, vcc_lo
	s_cbranch_execz .LBB74_9
; %bb.2:
	v_mov_b32_e32 v2, 0x7e
	s_mov_b32 s3, exec_lo
	v_cmpx_gt_u32_e32 0x43e00001, v4
	s_cbranch_execz .LBB74_8
; %bb.3:
	v_lshrrev_b32_e32 v10, 23, v4
	v_and_b32_e32 v5, 0x7fffff, v4
	v_cmp_gt_u32_e32 vcc_lo, 0x800000, v4
	s_delay_alu instid0(VALU_DEP_3) | instskip(NEXT) | instid1(VALU_DEP_1)
	v_sub_nc_u32_e64 v2, 0x79, v10 clamp
	v_cndmask_b32_e64 v11, v2, 0x78, vcc_lo
	s_delay_alu instid0(VALU_DEP_4) | instskip(NEXT) | instid1(VALU_DEP_2)
	v_or_b32_e32 v2, 0x800000, v5
	v_dual_mov_b32 v3, 0 :: v_dual_add_nc_u32 v4, 20, v11
	s_delay_alu instid0(VALU_DEP_2) | instskip(NEXT) | instid1(VALU_DEP_2)
	v_cndmask_b32_e32 v2, v2, v5, vcc_lo
	v_lshlrev_b64_e64 v[4:5], v4, -1
	s_delay_alu instid0(VALU_DEP_2) | instskip(SKIP_2) | instid1(VALU_DEP_2)
	v_lshrrev_b64 v[8:9], v11, v[2:3]
	v_add_nc_u32_e32 v6, 19, v11
	v_add_nc_u32_e32 v9, 0xffffff88, v10
	v_lshlrev_b64_e64 v[6:7], v6, 1
	v_bfi_b32 v5, v5, 0, 0
	v_bfi_b32 v4, v4, 0, v2
	v_and_b32_e32 v2, 0x100000, v8
	s_delay_alu instid0(VALU_DEP_2) | instskip(NEXT) | instid1(VALU_DEP_2)
	v_cmp_eq_u64_e64 s0, v[4:5], v[6:7]
	v_cmp_eq_u64_e64 s1, 0, v[2:3]
	v_cndmask_b32_e64 v2, v9, 0xffffff89, vcc_lo
	v_lshrrev_b32_e32 v4, 23, v8
	s_delay_alu instid0(VALU_DEP_1) | instskip(SKIP_3) | instid1(VALU_DEP_1)
	v_add3_u32 v5, v2, v11, v4
	s_and_b32 vcc_lo, s1, s0
	s_mov_b32 s0, exec_lo
	v_subrev_co_ci_u32_e64 v6, null, 0, v8, vcc_lo
                                        ; implicit-def: $vgpr4
	v_and_b32_e32 v2, 0xfffff, v6
	s_delay_alu instid0(VALU_DEP_1) | instskip(NEXT) | instid1(VALU_DEP_1)
	v_dual_add_nc_u32 v6, -1, v5 :: v_dual_add_nc_u32 v2, v2, v8
	v_cmpx_ne_u32_e32 0, v6
	s_xor_b32 s0, exec_lo, s0
	s_cbranch_execz .LBB74_5
; %bb.4:
	s_delay_alu instid0(VALU_DEP_2) | instskip(SKIP_2) | instid1(VALU_DEP_2)
	v_and_b32_e32 v8, 0x1000000, v2
	v_mov_b32_e32 v9, v3
	v_bfe_u32 v4, v2, 24, 1
	v_cmp_eq_u64_e32 vcc_lo, 0, v[8:9]
	s_delay_alu instid0(VALU_DEP_2)
	v_lshrrev_b64 v[2:3], v4, v[2:3]
	v_cndmask_b32_e32 v4, v5, v6, vcc_lo
.LBB74_5:
	s_and_not1_saveexec_b32 s0, s0
; %bb.6:
	s_delay_alu instid0(VALU_DEP_2)
	v_bfe_u32 v4, v2, 23, 1
; %bb.7:
	s_or_b32 exec_lo, exec_lo, s0
	s_delay_alu instid0(VALU_DEP_3) | instskip(NEXT) | instid1(VALU_DEP_2)
	v_lshrrev_b64 v[2:3], 20, v[2:3]
	v_cmp_gt_i32_e32 vcc_lo, 16, v4
	v_min_i32_e32 v5, 15, v4
	v_cmp_eq_u32_e64 s0, 0, v4
	s_delay_alu instid0(VALU_DEP_4) | instskip(NEXT) | instid1(VALU_DEP_3)
	v_dual_cndmask_b32 v3, 0, v3 :: v_dual_cndmask_b32 v2, 7, v2
	v_lshlrev_b32_e32 v5, 3, v5
	s_delay_alu instid0(VALU_DEP_2) | instskip(NEXT) | instid1(VALU_DEP_2)
	v_cmp_eq_u64_e32 vcc_lo, 0, v[2:3]
	v_and_or_b32 v2, v2, 7, v5
	s_and_b32 s0, s0, vcc_lo
	s_delay_alu instid0(VALU_DEP_1) | instid1(SALU_CYCLE_1)
	v_cndmask_b32_e64 v2, v2, 0, s0
.LBB74_8:
	s_or_b32 exec_lo, exec_lo, s3
.LBB74_9:
	s_delay_alu instid0(SALU_CYCLE_1)
	s_or_b32 exec_lo, exec_lo, s2
	v_add_nc_u64_e32 v[0:1], s[4:5], v[0:1]
	global_store_b8 v[0:1], v2, off
.LBB74_10:
	s_endpgm
	.section	.rodata,"a",@progbits
	.p2align	6, 0x0
	.amdhsa_kernel _Z11fill_kernelI12hipblaslt_f8Z21hipblaslt_init_deviceIS0_Ev8ABC_dims24hipblaslt_initializationbPT_mmmmmEUlmE7_EvS5_mmT0_
		.amdhsa_group_segment_fixed_size 0
		.amdhsa_private_segment_fixed_size 0
		.amdhsa_kernarg_size 288
		.amdhsa_user_sgpr_count 2
		.amdhsa_user_sgpr_dispatch_ptr 0
		.amdhsa_user_sgpr_queue_ptr 0
		.amdhsa_user_sgpr_kernarg_segment_ptr 1
		.amdhsa_user_sgpr_dispatch_id 0
		.amdhsa_user_sgpr_kernarg_preload_length 0
		.amdhsa_user_sgpr_kernarg_preload_offset 0
		.amdhsa_user_sgpr_private_segment_size 0
		.amdhsa_wavefront_size32 1
		.amdhsa_uses_dynamic_stack 0
		.amdhsa_enable_private_segment 0
		.amdhsa_system_sgpr_workgroup_id_x 1
		.amdhsa_system_sgpr_workgroup_id_y 0
		.amdhsa_system_sgpr_workgroup_id_z 0
		.amdhsa_system_sgpr_workgroup_info 0
		.amdhsa_system_vgpr_workitem_id 0
		.amdhsa_next_free_vgpr 12
		.amdhsa_next_free_sgpr 10
		.amdhsa_named_barrier_count 0
		.amdhsa_reserve_vcc 1
		.amdhsa_float_round_mode_32 0
		.amdhsa_float_round_mode_16_64 0
		.amdhsa_float_denorm_mode_32 3
		.amdhsa_float_denorm_mode_16_64 3
		.amdhsa_fp16_overflow 0
		.amdhsa_memory_ordered 1
		.amdhsa_forward_progress 1
		.amdhsa_inst_pref_size 7
		.amdhsa_round_robin_scheduling 0
		.amdhsa_exception_fp_ieee_invalid_op 0
		.amdhsa_exception_fp_denorm_src 0
		.amdhsa_exception_fp_ieee_div_zero 0
		.amdhsa_exception_fp_ieee_overflow 0
		.amdhsa_exception_fp_ieee_underflow 0
		.amdhsa_exception_fp_ieee_inexact 0
		.amdhsa_exception_int_div_zero 0
	.end_amdhsa_kernel
	.section	.text._Z11fill_kernelI12hipblaslt_f8Z21hipblaslt_init_deviceIS0_Ev8ABC_dims24hipblaslt_initializationbPT_mmmmmEUlmE7_EvS5_mmT0_,"axG",@progbits,_Z11fill_kernelI12hipblaslt_f8Z21hipblaslt_init_deviceIS0_Ev8ABC_dims24hipblaslt_initializationbPT_mmmmmEUlmE7_EvS5_mmT0_,comdat
.Lfunc_end74:
	.size	_Z11fill_kernelI12hipblaslt_f8Z21hipblaslt_init_deviceIS0_Ev8ABC_dims24hipblaslt_initializationbPT_mmmmmEUlmE7_EvS5_mmT0_, .Lfunc_end74-_Z11fill_kernelI12hipblaslt_f8Z21hipblaslt_init_deviceIS0_Ev8ABC_dims24hipblaslt_initializationbPT_mmmmmEUlmE7_EvS5_mmT0_
                                        ; -- End function
	.set _Z11fill_kernelI12hipblaslt_f8Z21hipblaslt_init_deviceIS0_Ev8ABC_dims24hipblaslt_initializationbPT_mmmmmEUlmE7_EvS5_mmT0_.num_vgpr, 12
	.set _Z11fill_kernelI12hipblaslt_f8Z21hipblaslt_init_deviceIS0_Ev8ABC_dims24hipblaslt_initializationbPT_mmmmmEUlmE7_EvS5_mmT0_.num_agpr, 0
	.set _Z11fill_kernelI12hipblaslt_f8Z21hipblaslt_init_deviceIS0_Ev8ABC_dims24hipblaslt_initializationbPT_mmmmmEUlmE7_EvS5_mmT0_.numbered_sgpr, 10
	.set _Z11fill_kernelI12hipblaslt_f8Z21hipblaslt_init_deviceIS0_Ev8ABC_dims24hipblaslt_initializationbPT_mmmmmEUlmE7_EvS5_mmT0_.num_named_barrier, 0
	.set _Z11fill_kernelI12hipblaslt_f8Z21hipblaslt_init_deviceIS0_Ev8ABC_dims24hipblaslt_initializationbPT_mmmmmEUlmE7_EvS5_mmT0_.private_seg_size, 0
	.set _Z11fill_kernelI12hipblaslt_f8Z21hipblaslt_init_deviceIS0_Ev8ABC_dims24hipblaslt_initializationbPT_mmmmmEUlmE7_EvS5_mmT0_.uses_vcc, 1
	.set _Z11fill_kernelI12hipblaslt_f8Z21hipblaslt_init_deviceIS0_Ev8ABC_dims24hipblaslt_initializationbPT_mmmmmEUlmE7_EvS5_mmT0_.uses_flat_scratch, 0
	.set _Z11fill_kernelI12hipblaslt_f8Z21hipblaslt_init_deviceIS0_Ev8ABC_dims24hipblaslt_initializationbPT_mmmmmEUlmE7_EvS5_mmT0_.has_dyn_sized_stack, 0
	.set _Z11fill_kernelI12hipblaslt_f8Z21hipblaslt_init_deviceIS0_Ev8ABC_dims24hipblaslt_initializationbPT_mmmmmEUlmE7_EvS5_mmT0_.has_recursion, 0
	.set _Z11fill_kernelI12hipblaslt_f8Z21hipblaslt_init_deviceIS0_Ev8ABC_dims24hipblaslt_initializationbPT_mmmmmEUlmE7_EvS5_mmT0_.has_indirect_call, 0
	.section	.AMDGPU.csdata,"",@progbits
; Kernel info:
; codeLenInByte = 836
; TotalNumSgprs: 12
; NumVgprs: 12
; ScratchSize: 0
; MemoryBound: 0
; FloatMode: 240
; IeeeMode: 1
; LDSByteSize: 0 bytes/workgroup (compile time only)
; SGPRBlocks: 0
; VGPRBlocks: 0
; NumSGPRsForWavesPerEU: 12
; NumVGPRsForWavesPerEU: 12
; NamedBarCnt: 0
; Occupancy: 16
; WaveLimiterHint : 0
; COMPUTE_PGM_RSRC2:SCRATCH_EN: 0
; COMPUTE_PGM_RSRC2:USER_SGPR: 2
; COMPUTE_PGM_RSRC2:TRAP_HANDLER: 0
; COMPUTE_PGM_RSRC2:TGID_X_EN: 1
; COMPUTE_PGM_RSRC2:TGID_Y_EN: 0
; COMPUTE_PGM_RSRC2:TGID_Z_EN: 0
; COMPUTE_PGM_RSRC2:TIDIG_COMP_CNT: 0
	.section	.text._Z11fill_kernelI12hipblaslt_f8Z21hipblaslt_init_deviceIS0_Ev8ABC_dims24hipblaslt_initializationbPT_mmmmmEUlmE8_EvS5_mmT0_,"axG",@progbits,_Z11fill_kernelI12hipblaslt_f8Z21hipblaslt_init_deviceIS0_Ev8ABC_dims24hipblaslt_initializationbPT_mmmmmEUlmE8_EvS5_mmT0_,comdat
	.protected	_Z11fill_kernelI12hipblaslt_f8Z21hipblaslt_init_deviceIS0_Ev8ABC_dims24hipblaslt_initializationbPT_mmmmmEUlmE8_EvS5_mmT0_ ; -- Begin function _Z11fill_kernelI12hipblaslt_f8Z21hipblaslt_init_deviceIS0_Ev8ABC_dims24hipblaslt_initializationbPT_mmmmmEUlmE8_EvS5_mmT0_
	.globl	_Z11fill_kernelI12hipblaslt_f8Z21hipblaslt_init_deviceIS0_Ev8ABC_dims24hipblaslt_initializationbPT_mmmmmEUlmE8_EvS5_mmT0_
	.p2align	8
	.type	_Z11fill_kernelI12hipblaslt_f8Z21hipblaslt_init_deviceIS0_Ev8ABC_dims24hipblaslt_initializationbPT_mmmmmEUlmE8_EvS5_mmT0_,@function
_Z11fill_kernelI12hipblaslt_f8Z21hipblaslt_init_deviceIS0_Ev8ABC_dims24hipblaslt_initializationbPT_mmmmmEUlmE8_EvS5_mmT0_: ; @_Z11fill_kernelI12hipblaslt_f8Z21hipblaslt_init_deviceIS0_Ev8ABC_dims24hipblaslt_initializationbPT_mmmmmEUlmE8_EvS5_mmT0_
; %bb.0:
	s_clause 0x1
	s_load_b32 s2, s[0:1], 0x2c
	s_load_b128 s[4:7], s[0:1], 0x0
	s_bfe_u32 s3, ttmp6, 0x4000c
	s_and_b32 s8, ttmp6, 15
	s_add_co_i32 s3, s3, 1
	s_getreg_b32 s9, hwreg(HW_REG_IB_STS2, 6, 4)
	s_mul_i32 s3, ttmp9, s3
	v_mov_b32_e32 v1, 0
	s_add_co_i32 s8, s8, s3
	s_wait_kmcnt 0x0
	s_and_b32 s2, s2, 0xffff
	s_cmp_eq_u32 s9, 0
	s_cselect_b32 s3, ttmp9, s8
	s_delay_alu instid0(SALU_CYCLE_1) | instskip(SKIP_1) | instid1(VALU_DEP_1)
	v_mad_u32 v0, s3, s2, v0
	s_mov_b32 s2, exec_lo
	v_cmpx_gt_u64_e64 s[6:7], v[0:1]
	s_cbranch_execz .LBB75_2
; %bb.1:
	s_load_b64 s[0:1], s[0:1], 0x10
	s_wait_kmcnt 0x0
	s_add_nc_u64 s[0:1], s[4:5], s[0:1]
	s_delay_alu instid0(SALU_CYCLE_1)
	v_add_nc_u64_e32 v[2:3], s[0:1], v[0:1]
	global_store_b8 v[2:3], v1, off
.LBB75_2:
	s_endpgm
	.section	.rodata,"a",@progbits
	.p2align	6, 0x0
	.amdhsa_kernel _Z11fill_kernelI12hipblaslt_f8Z21hipblaslt_init_deviceIS0_Ev8ABC_dims24hipblaslt_initializationbPT_mmmmmEUlmE8_EvS5_mmT0_
		.amdhsa_group_segment_fixed_size 0
		.amdhsa_private_segment_fixed_size 0
		.amdhsa_kernarg_size 288
		.amdhsa_user_sgpr_count 2
		.amdhsa_user_sgpr_dispatch_ptr 0
		.amdhsa_user_sgpr_queue_ptr 0
		.amdhsa_user_sgpr_kernarg_segment_ptr 1
		.amdhsa_user_sgpr_dispatch_id 0
		.amdhsa_user_sgpr_kernarg_preload_length 0
		.amdhsa_user_sgpr_kernarg_preload_offset 0
		.amdhsa_user_sgpr_private_segment_size 0
		.amdhsa_wavefront_size32 1
		.amdhsa_uses_dynamic_stack 0
		.amdhsa_enable_private_segment 0
		.amdhsa_system_sgpr_workgroup_id_x 1
		.amdhsa_system_sgpr_workgroup_id_y 0
		.amdhsa_system_sgpr_workgroup_id_z 0
		.amdhsa_system_sgpr_workgroup_info 0
		.amdhsa_system_vgpr_workitem_id 0
		.amdhsa_next_free_vgpr 4
		.amdhsa_next_free_sgpr 10
		.amdhsa_named_barrier_count 0
		.amdhsa_reserve_vcc 0
		.amdhsa_float_round_mode_32 0
		.amdhsa_float_round_mode_16_64 0
		.amdhsa_float_denorm_mode_32 3
		.amdhsa_float_denorm_mode_16_64 3
		.amdhsa_fp16_overflow 0
		.amdhsa_memory_ordered 1
		.amdhsa_forward_progress 1
		.amdhsa_inst_pref_size 2
		.amdhsa_round_robin_scheduling 0
		.amdhsa_exception_fp_ieee_invalid_op 0
		.amdhsa_exception_fp_denorm_src 0
		.amdhsa_exception_fp_ieee_div_zero 0
		.amdhsa_exception_fp_ieee_overflow 0
		.amdhsa_exception_fp_ieee_underflow 0
		.amdhsa_exception_fp_ieee_inexact 0
		.amdhsa_exception_int_div_zero 0
	.end_amdhsa_kernel
	.section	.text._Z11fill_kernelI12hipblaslt_f8Z21hipblaslt_init_deviceIS0_Ev8ABC_dims24hipblaslt_initializationbPT_mmmmmEUlmE8_EvS5_mmT0_,"axG",@progbits,_Z11fill_kernelI12hipblaslt_f8Z21hipblaslt_init_deviceIS0_Ev8ABC_dims24hipblaslt_initializationbPT_mmmmmEUlmE8_EvS5_mmT0_,comdat
.Lfunc_end75:
	.size	_Z11fill_kernelI12hipblaslt_f8Z21hipblaslt_init_deviceIS0_Ev8ABC_dims24hipblaslt_initializationbPT_mmmmmEUlmE8_EvS5_mmT0_, .Lfunc_end75-_Z11fill_kernelI12hipblaslt_f8Z21hipblaslt_init_deviceIS0_Ev8ABC_dims24hipblaslt_initializationbPT_mmmmmEUlmE8_EvS5_mmT0_
                                        ; -- End function
	.set _Z11fill_kernelI12hipblaslt_f8Z21hipblaslt_init_deviceIS0_Ev8ABC_dims24hipblaslt_initializationbPT_mmmmmEUlmE8_EvS5_mmT0_.num_vgpr, 4
	.set _Z11fill_kernelI12hipblaslt_f8Z21hipblaslt_init_deviceIS0_Ev8ABC_dims24hipblaslt_initializationbPT_mmmmmEUlmE8_EvS5_mmT0_.num_agpr, 0
	.set _Z11fill_kernelI12hipblaslt_f8Z21hipblaslt_init_deviceIS0_Ev8ABC_dims24hipblaslt_initializationbPT_mmmmmEUlmE8_EvS5_mmT0_.numbered_sgpr, 10
	.set _Z11fill_kernelI12hipblaslt_f8Z21hipblaslt_init_deviceIS0_Ev8ABC_dims24hipblaslt_initializationbPT_mmmmmEUlmE8_EvS5_mmT0_.num_named_barrier, 0
	.set _Z11fill_kernelI12hipblaslt_f8Z21hipblaslt_init_deviceIS0_Ev8ABC_dims24hipblaslt_initializationbPT_mmmmmEUlmE8_EvS5_mmT0_.private_seg_size, 0
	.set _Z11fill_kernelI12hipblaslt_f8Z21hipblaslt_init_deviceIS0_Ev8ABC_dims24hipblaslt_initializationbPT_mmmmmEUlmE8_EvS5_mmT0_.uses_vcc, 0
	.set _Z11fill_kernelI12hipblaslt_f8Z21hipblaslt_init_deviceIS0_Ev8ABC_dims24hipblaslt_initializationbPT_mmmmmEUlmE8_EvS5_mmT0_.uses_flat_scratch, 0
	.set _Z11fill_kernelI12hipblaslt_f8Z21hipblaslt_init_deviceIS0_Ev8ABC_dims24hipblaslt_initializationbPT_mmmmmEUlmE8_EvS5_mmT0_.has_dyn_sized_stack, 0
	.set _Z11fill_kernelI12hipblaslt_f8Z21hipblaslt_init_deviceIS0_Ev8ABC_dims24hipblaslt_initializationbPT_mmmmmEUlmE8_EvS5_mmT0_.has_recursion, 0
	.set _Z11fill_kernelI12hipblaslt_f8Z21hipblaslt_init_deviceIS0_Ev8ABC_dims24hipblaslt_initializationbPT_mmmmmEUlmE8_EvS5_mmT0_.has_indirect_call, 0
	.section	.AMDGPU.csdata,"",@progbits
; Kernel info:
; codeLenInByte = 140
; TotalNumSgprs: 10
; NumVgprs: 4
; ScratchSize: 0
; MemoryBound: 0
; FloatMode: 240
; IeeeMode: 1
; LDSByteSize: 0 bytes/workgroup (compile time only)
; SGPRBlocks: 0
; VGPRBlocks: 0
; NumSGPRsForWavesPerEU: 10
; NumVGPRsForWavesPerEU: 4
; NamedBarCnt: 0
; Occupancy: 16
; WaveLimiterHint : 0
; COMPUTE_PGM_RSRC2:SCRATCH_EN: 0
; COMPUTE_PGM_RSRC2:USER_SGPR: 2
; COMPUTE_PGM_RSRC2:TRAP_HANDLER: 0
; COMPUTE_PGM_RSRC2:TGID_X_EN: 1
; COMPUTE_PGM_RSRC2:TGID_Y_EN: 0
; COMPUTE_PGM_RSRC2:TGID_Z_EN: 0
; COMPUTE_PGM_RSRC2:TIDIG_COMP_CNT: 0
	.section	.text._Z11fill_kernelI12hipblaslt_f8Z21hipblaslt_init_deviceIS0_Ev8ABC_dims24hipblaslt_initializationbPT_mmmmmEUlmE9_EvS5_mmT0_,"axG",@progbits,_Z11fill_kernelI12hipblaslt_f8Z21hipblaslt_init_deviceIS0_Ev8ABC_dims24hipblaslt_initializationbPT_mmmmmEUlmE9_EvS5_mmT0_,comdat
	.protected	_Z11fill_kernelI12hipblaslt_f8Z21hipblaslt_init_deviceIS0_Ev8ABC_dims24hipblaslt_initializationbPT_mmmmmEUlmE9_EvS5_mmT0_ ; -- Begin function _Z11fill_kernelI12hipblaslt_f8Z21hipblaslt_init_deviceIS0_Ev8ABC_dims24hipblaslt_initializationbPT_mmmmmEUlmE9_EvS5_mmT0_
	.globl	_Z11fill_kernelI12hipblaslt_f8Z21hipblaslt_init_deviceIS0_Ev8ABC_dims24hipblaslt_initializationbPT_mmmmmEUlmE9_EvS5_mmT0_
	.p2align	8
	.type	_Z11fill_kernelI12hipblaslt_f8Z21hipblaslt_init_deviceIS0_Ev8ABC_dims24hipblaslt_initializationbPT_mmmmmEUlmE9_EvS5_mmT0_,@function
_Z11fill_kernelI12hipblaslt_f8Z21hipblaslt_init_deviceIS0_Ev8ABC_dims24hipblaslt_initializationbPT_mmmmmEUlmE9_EvS5_mmT0_: ; @_Z11fill_kernelI12hipblaslt_f8Z21hipblaslt_init_deviceIS0_Ev8ABC_dims24hipblaslt_initializationbPT_mmmmmEUlmE9_EvS5_mmT0_
; %bb.0:
	s_clause 0x1
	s_load_b32 s2, s[0:1], 0x2c
	s_load_b128 s[4:7], s[0:1], 0x0
	s_bfe_u32 s3, ttmp6, 0x4000c
	s_and_b32 s8, ttmp6, 15
	s_add_co_i32 s3, s3, 1
	s_getreg_b32 s9, hwreg(HW_REG_IB_STS2, 6, 4)
	s_mul_i32 s3, ttmp9, s3
	v_mov_b32_e32 v1, 0
	s_add_co_i32 s8, s8, s3
	s_wait_kmcnt 0x0
	s_and_b32 s2, s2, 0xffff
	s_cmp_eq_u32 s9, 0
	s_cselect_b32 s3, ttmp9, s8
	s_delay_alu instid0(SALU_CYCLE_1) | instskip(SKIP_1) | instid1(VALU_DEP_1)
	v_mad_u32 v0, s3, s2, v0
	s_mov_b32 s2, exec_lo
	v_cmpx_gt_u64_e64 s[6:7], v[0:1]
	s_cbranch_execz .LBB76_24
; %bb.1:
	s_load_b96 s[0:2], s[0:1], 0x10
	s_wait_kmcnt 0x0
	v_add_nc_u64_e32 v[0:1], s[0:1], v[0:1]
	s_mov_b32 s0, 0xb90ffb1d
	s_delay_alu instid0(VALU_DEP_1) | instskip(NEXT) | instid1(VALU_DEP_1)
	v_add_nc_u32_e32 v2, s2, v0
	v_mad_u32 v3, v2, s0, 0xdc6d3ef
	s_mov_b32 s0, 0x6ab9d291
	s_delay_alu instid0(VALU_DEP_1) | instskip(SKIP_3) | instid1(VALU_DEP_2)
	v_lshrrev_b32_e32 v5, 2, v3
	v_mad_u32 v4, 0x10dcd, v2, 1
	v_mad_u32 v6, v2, s0, 0xdfb3c992
	s_mov_b32 s0, exec_lo
	v_dual_lshlrev_b32 v7, 4, v4 :: v_dual_bitop2_b32 v3, v5, v3 bitop3:0x14
	s_delay_alu instid0(VALU_DEP_1) | instskip(NEXT) | instid1(VALU_DEP_1)
	v_dual_lshlrev_b32 v5, 1, v3 :: v_dual_lshrrev_b32 v8, 2, v6
	v_xor_b32_e32 v6, v8, v6
	s_delay_alu instid0(VALU_DEP_2) | instskip(NEXT) | instid1(VALU_DEP_1)
	v_xor_b32_e32 v5, v7, v5
	v_xor3_b32 v3, v5, v4, v3
	s_delay_alu instid0(VALU_DEP_1) | instskip(NEXT) | instid1(VALU_DEP_1)
	v_dual_lshlrev_b32 v5, 4, v3 :: v_dual_lshlrev_b32 v4, 1, v6
	v_xor_b32_e32 v5, v4, v5
	v_xor_b32_e32 v4, 0x587c5, v2
	s_delay_alu instid0(VALU_DEP_2) | instskip(NEXT) | instid1(VALU_DEP_1)
	v_xor3_b32 v2, v5, v6, v3
                                        ; implicit-def: $vgpr6
                                        ; implicit-def: $vgpr5
	v_add3_u32 v2, v4, v2, 0xb0f8a
	s_delay_alu instid0(VALU_DEP_1) | instskip(NEXT) | instid1(VALU_DEP_1)
	v_cvt_f32_u32_e32 v2, v2
	v_mul_f32_e32 v2, 0x2f800000, v2
	s_delay_alu instid0(VALU_DEP_1) | instskip(NEXT) | instid1(VALU_DEP_1)
	v_mul_f32_e32 v2, 0x40c90fdb, v2
	v_cmpx_ngt_f32_e32 0x48000000, v2
	s_xor_b32 s2, exec_lo, s0
	s_cbranch_execz .LBB76_3
; %bb.2:
	s_mov_b32 s0, 0x7fffff
	v_mov_b32_e32 v7, 0
	v_and_or_b32 v6, v2, s0, 0x800000
	s_mov_b64 s[0:1], 0xfe5163ab
	v_lshrrev_b32_e32 v5, 23, v2
	s_delay_alu instid0(VALU_DEP_2) | instskip(NEXT) | instid1(VALU_DEP_1)
	v_mul_u64_e32 v[8:9], s[0:1], v[6:7]
	v_dual_mov_b32 v10, v9 :: v_dual_mov_b32 v11, v7
	v_dual_mov_b32 v13, v7 :: v_dual_mov_b32 v15, v7
	;; [unrolled: 1-line block ×3, first 2 shown]
	s_delay_alu instid0(VALU_DEP_3) | instskip(NEXT) | instid1(VALU_DEP_1)
	v_mad_nc_u64_u32 v[10:11], 0x3c439041, v6, v[10:11]
	v_mov_b32_e32 v12, v11
	s_delay_alu instid0(VALU_DEP_1) | instskip(NEXT) | instid1(VALU_DEP_1)
	v_mad_nc_u64_u32 v[12:13], 0xdb629599, v6, v[12:13]
	v_mov_b32_e32 v14, v13
	s_delay_alu instid0(VALU_DEP_1) | instskip(NEXT) | instid1(VALU_DEP_1)
	;; [unrolled: 3-line block ×3, first 2 shown]
	v_mad_nc_u64_u32 v[16:17], 0xfc2757d1, v6, v[16:17]
	v_dual_mov_b32 v19, v7 :: v_dual_mov_b32 v18, v17
	s_delay_alu instid0(VALU_DEP_1) | instskip(NEXT) | instid1(VALU_DEP_1)
	v_mad_nc_u64_u32 v[18:19], 0x4e441529, v6, v[18:19]
	v_dual_mov_b32 v20, v19 :: v_dual_add_nc_u32 v5, 0xffffff88, v5
	s_delay_alu instid0(VALU_DEP_1) | instskip(NEXT) | instid1(VALU_DEP_2)
	v_cmp_lt_u32_e32 vcc_lo, 63, v5
	v_mad_nc_u64_u32 v[6:7], 0xa2f9836e, v6, v[20:21]
	v_cndmask_b32_e64 v9, 0, 0xffffffc0, vcc_lo
	v_dual_cndmask_b32 v11, v18, v14 :: v_dual_cndmask_b32 v8, v12, v8
	s_delay_alu instid0(VALU_DEP_2) | instskip(NEXT) | instid1(VALU_DEP_1)
	v_add_nc_u32_e32 v5, v9, v5
	v_cmp_lt_u32_e64 s0, 31, v5
	v_dual_cndmask_b32 v6, v6, v16 :: v_dual_cndmask_b32 v7, v7, v18
	s_delay_alu instid0(VALU_DEP_2) | instskip(NEXT) | instid1(VALU_DEP_1)
	v_cndmask_b32_e64 v9, 0, 0xffffffe0, s0
	v_add_nc_u32_e32 v5, v9, v5
	s_delay_alu instid0(VALU_DEP_1) | instskip(NEXT) | instid1(VALU_DEP_1)
	v_cmp_lt_u32_e64 s1, 31, v5
	v_cndmask_b32_e64 v9, 0, 0xffffffe0, s1
	s_delay_alu instid0(VALU_DEP_1) | instskip(SKIP_2) | instid1(VALU_DEP_3)
	v_dual_cndmask_b32 v13, v16, v12, vcc_lo :: v_dual_add_nc_u32 v5, v9, v5
	v_cndmask_b32_e32 v9, v14, v10, vcc_lo
	v_dual_cndmask_b32 v10, v6, v11, s0 :: v_dual_cndmask_b32 v6, v7, v6, s0
	v_cndmask_b32_e64 v7, v11, v13, s0
	s_delay_alu instid0(VALU_DEP_4) | instskip(NEXT) | instid1(VALU_DEP_4)
	v_sub_nc_u32_e32 v11, 32, v5
	v_cndmask_b32_e64 v13, v13, v9, s0
	v_cmp_eq_u32_e32 vcc_lo, 0, v5
	v_cndmask_b32_e64 v6, v6, v10, s1
	s_delay_alu instid0(VALU_DEP_3) | instskip(NEXT) | instid1(VALU_DEP_1)
	v_dual_cndmask_b32 v10, v10, v7, s1 :: v_dual_cndmask_b32 v7, v7, v13, s1
	v_alignbit_b32 v14, v6, v10, v11
	s_delay_alu instid0(VALU_DEP_2) | instskip(NEXT) | instid1(VALU_DEP_2)
	v_alignbit_b32 v12, v10, v7, v11
	v_dual_cndmask_b32 v5, v14, v6, vcc_lo :: v_dual_cndmask_b32 v6, v9, v8, s0
	s_delay_alu instid0(VALU_DEP_1) | instskip(NEXT) | instid1(VALU_DEP_1)
	v_bfe_u32 v9, v5, 29, 1
	v_dual_cndmask_b32 v8, v12, v10, vcc_lo :: v_dual_sub_nc_u32 v12, 0, v9
	s_delay_alu instid0(VALU_DEP_1) | instskip(NEXT) | instid1(VALU_DEP_1)
	v_alignbit_b32 v10, v5, v8, 30
	v_dual_cndmask_b32 v6, v13, v6, s1 :: v_dual_bitop2_b32 v10, v10, v12 bitop3:0x14
	s_delay_alu instid0(VALU_DEP_1) | instskip(NEXT) | instid1(VALU_DEP_1)
	v_alignbit_b32 v11, v7, v6, v11
	v_cndmask_b32_e32 v7, v11, v7, vcc_lo
	s_delay_alu instid0(VALU_DEP_3) | instskip(NEXT) | instid1(VALU_DEP_2)
	v_clz_i32_u32_e32 v11, v10
	v_alignbit_b32 v6, v7, v6, 30
	s_delay_alu instid0(VALU_DEP_2) | instskip(NEXT) | instid1(VALU_DEP_2)
	v_min_u32_e32 v11, 32, v11
	v_xor_b32_e32 v6, v6, v12
	v_alignbit_b32 v8, v8, v7, 30
	s_delay_alu instid0(VALU_DEP_1) | instskip(SKIP_1) | instid1(VALU_DEP_1)
	v_dual_lshlrev_b32 v13, 23, v11 :: v_dual_bitop2_b32 v7, v8, v12 bitop3:0x14
	v_dual_sub_nc_u32 v8, 31, v11 :: v_dual_lshrrev_b32 v12, 29, v5
	v_alignbit_b32 v10, v10, v7, v8
	v_alignbit_b32 v6, v7, v6, v8
	s_delay_alu instid0(VALU_DEP_3) | instskip(NEXT) | instid1(VALU_DEP_2)
	v_lshlrev_b32_e32 v7, 31, v12
	v_alignbit_b32 v8, v10, v6, 9
	s_delay_alu instid0(VALU_DEP_2) | instskip(NEXT) | instid1(VALU_DEP_2)
	v_dual_lshrrev_b32 v10, 9, v10 :: v_dual_bitop2_b32 v12, 0.5, v7 bitop3:0x54
	v_clz_i32_u32_e32 v14, v8
	s_delay_alu instid0(VALU_DEP_2) | instskip(SKIP_1) | instid1(VALU_DEP_3)
	v_sub_nc_u32_e32 v12, v12, v13
	v_or_b32_e32 v7, 0x33000000, v7
	v_min_u32_e32 v13, 32, v14
	s_delay_alu instid0(VALU_DEP_1) | instskip(NEXT) | instid1(VALU_DEP_4)
	v_add_lshl_u32 v11, v13, v11, 23
	v_or_b32_e32 v10, v10, v12
	v_not_b32_e32 v12, v13
	s_delay_alu instid0(VALU_DEP_2) | instskip(NEXT) | instid1(VALU_DEP_2)
	v_dual_mul_f32 v14, 0x3fc90fda, v10 :: v_dual_sub_nc_u32 v7, v7, v11
	v_alignbit_b32 v6, v8, v6, v12
	s_delay_alu instid0(VALU_DEP_2) | instskip(NEXT) | instid1(VALU_DEP_2)
	v_fma_f32 v8, 0x3fc90fda, v10, -v14
	v_lshrrev_b32_e32 v6, 9, v6
	s_delay_alu instid0(VALU_DEP_2) | instskip(NEXT) | instid1(VALU_DEP_2)
	v_fmamk_f32 v8, v10, 0x33a22168, v8
	v_or_b32_e32 v6, v7, v6
	s_delay_alu instid0(VALU_DEP_1) | instskip(NEXT) | instid1(VALU_DEP_1)
	v_fmac_f32_e32 v8, 0x3fc90fda, v6
	v_dual_add_f32 v5, v14, v8 :: v_dual_lshrrev_b32 v6, 30, v5
	s_delay_alu instid0(VALU_DEP_1)
	v_add_nc_u32_e32 v6, v9, v6
.LBB76_3:
	s_and_not1_saveexec_b32 s0, s2
; %bb.4:
	v_mul_f32_e32 v5, 0x3f22f983, v2
	s_delay_alu instid0(VALU_DEP_1) | instskip(NEXT) | instid1(VALU_DEP_1)
	v_rndne_f32_e32 v6, v5
	v_fmamk_f32 v5, v6, 0xbfc90fda, v2
	s_delay_alu instid0(VALU_DEP_1) | instskip(NEXT) | instid1(VALU_DEP_1)
	v_fmamk_f32 v5, v6, 0xb3a22168, v5
	v_fmamk_f32 v5, v6, 0xa7c234c4, v5
	v_cvt_i32_f32_e32 v6, v6
; %bb.5:
	s_or_b32 exec_lo, exec_lo, s0
	v_add3_u32 v3, v4, v3, 0x587c5
	s_mov_b32 s0, 0xb94c1982
	s_mov_b32 s1, 0x37d75334
	s_delay_alu instid0(VALU_DEP_1) | instskip(NEXT) | instid1(VALU_DEP_1)
	v_cvt_f32_u32_e32 v3, v3
	v_mul_f32_e32 v3, 0x2f800000, v3
	s_delay_alu instid0(VALU_DEP_1) | instskip(SKIP_1) | instid1(VALU_DEP_1)
	v_cmp_ngt_f32_e32 vcc_lo, 0x2edbe6ff, v3
	v_cndmask_b32_e32 v3, 0x2edbe6ff, v3, vcc_lo
	v_cmp_gt_f32_e32 vcc_lo, 0x800000, v3
	v_cndmask_b32_e64 v4, 0, 32, vcc_lo
	v_cndmask_b32_e64 v7, 0, 0x41b17218, vcc_lo
	s_delay_alu instid0(VALU_DEP_2) | instskip(NEXT) | instid1(VALU_DEP_1)
	v_ldexp_f32 v3, v3, v4
	v_log_f32_e32 v3, v3
	v_nop
	s_delay_alu instid0(TRANS32_DEP_1) | instskip(SKIP_1) | instid1(VALU_DEP_2)
	v_mul_f32_e32 v4, 0x3f317217, v3
	v_cmp_gt_f32_e64 vcc_lo, 0x7f800000, |v3|
	v_fma_f32 v4, 0x3f317217, v3, -v4
	s_delay_alu instid0(VALU_DEP_1) | instskip(NEXT) | instid1(VALU_DEP_1)
	v_fmamk_f32 v4, v3, 0x3377d1cf, v4
	v_fmac_f32_e32 v4, 0x3f317217, v3
	s_delay_alu instid0(VALU_DEP_1) | instskip(NEXT) | instid1(VALU_DEP_1)
	v_cndmask_b32_e32 v3, v3, v4, vcc_lo
	v_dual_sub_f32 v3, v3, v7 :: v_dual_mul_f32 v7, v5, v5
	s_delay_alu instid0(VALU_DEP_1) | instskip(NEXT) | instid1(VALU_DEP_2)
	v_mul_f32_e32 v3, -2.0, v3
	v_fmaak_f32 v9, s0, v7, 0x3c0881c4
	v_fmaak_f32 v10, s1, v7, 0xbab64f3b
	s_delay_alu instid0(VALU_DEP_3) | instskip(SKIP_1) | instid1(VALU_DEP_2)
	v_mul_f32_e32 v4, 0x4f800000, v3
	v_cmp_gt_f32_e32 vcc_lo, 0xf800000, v3
	v_cndmask_b32_e32 v3, v3, v4, vcc_lo
	s_delay_alu instid0(VALU_DEP_1) | instskip(SKIP_1) | instid1(TRANS32_DEP_1)
	v_sqrt_f32_e32 v4, v3
	v_nop
	v_dual_add_nc_u32 v8, -1, v4 :: v_dual_add_nc_u32 v11, 1, v4
	s_delay_alu instid0(VALU_DEP_1) | instskip(NEXT) | instid1(VALU_DEP_1)
	v_dual_fma_f32 v12, -v8, v4, v3 :: v_dual_fma_f32 v13, -v11, v4, v3
	v_cmp_ge_f32_e64 s0, 0, v12
	s_delay_alu instid0(VALU_DEP_1) | instskip(NEXT) | instid1(VALU_DEP_3)
	v_cndmask_b32_e64 v4, v4, v8, s0
	v_cmp_lt_f32_e64 s0, 0, v13
	s_delay_alu instid0(VALU_DEP_1) | instskip(SKIP_1) | instid1(VALU_DEP_1)
	v_cndmask_b32_e64 v4, v4, v11, s0
	v_fmaak_f32 v9, v7, v9, 0xbe2aaa9d
	v_mul_f32_e32 v8, v7, v9
	s_delay_alu instid0(VALU_DEP_1) | instskip(NEXT) | instid1(VALU_DEP_4)
	v_fmac_f32_e32 v5, v5, v8
	v_mul_f32_e32 v8, 0x37800000, v4
	s_delay_alu instid0(VALU_DEP_1) | instskip(SKIP_1) | instid1(VALU_DEP_1)
	v_cndmask_b32_e32 v4, v4, v8, vcc_lo
	v_fmaak_f32 v10, v7, v10, 0x3d2aabf7
	v_fmaak_f32 v9, v7, v10, 0xbf000004
	v_dual_lshlrev_b32 v6, 30, v6 :: v_dual_bitop2_b32 v10, 1, v6 bitop3:0x40
	v_cmp_class_f32_e64 vcc_lo, v3, 0x260
	s_delay_alu instid0(VALU_DEP_3) | instskip(NEXT) | instid1(VALU_DEP_3)
	v_fma_f32 v7, v7, v9, 1.0
	v_cmp_eq_u32_e64 s0, 0, v10
	v_cndmask_b32_e32 v3, v4, v3, vcc_lo
	v_cmp_lg_f32_e32 vcc_lo, 0x7f800000, v2
	s_delay_alu instid0(VALU_DEP_3) | instskip(SKIP_1) | instid1(VALU_DEP_1)
	v_cndmask_b32_e64 v5, -v5, v7, s0
	s_mov_b32 s0, exec_lo
	v_bitop3_b32 v5, v6, v5, 0x80000000 bitop3:0x6c
	s_delay_alu instid0(VALU_DEP_1) | instskip(NEXT) | instid1(VALU_DEP_1)
	v_cndmask_b32_e32 v2, 0x7fc00000, v5, vcc_lo
                                        ; implicit-def: $vgpr5
	v_dual_mul_f32 v6, v3, v2 :: v_dual_mov_b32 v3, 0
	s_delay_alu instid0(VALU_DEP_1) | instskip(SKIP_1) | instid1(VALU_DEP_2)
	v_and_b32_e32 v2, 0x7f800000, v6
	v_lshrrev_b32_e32 v4, 24, v6
	v_cmpx_ne_u64_e32 0x7f800000, v[2:3]
	s_xor_b32 s2, exec_lo, s0
	s_cbranch_execz .LBB76_21
; %bb.6:
	v_and_b32_e32 v2, 0x7fffffff, v6
	v_and_b32_e32 v4, 0x80, v4
                                        ; implicit-def: $vgpr5
	s_mov_b32 s0, exec_lo
	s_delay_alu instid0(VALU_DEP_2)
	v_cmpx_gt_u64_e32 0x43e00001, v[2:3]
	s_xor_b32 s3, exec_lo, s0
	s_cbranch_execz .LBB76_18
; %bb.7:
	v_mov_b32_e32 v5, 0
	s_mov_b32 s6, exec_lo
	v_cmpx_ne_u32_e32 0, v6
	s_cbranch_execz .LBB76_17
; %bb.8:
	v_bfe_u32 v5, v6, 23, 8
	v_and_b32_e32 v6, 0x7fffff, v6
	v_mov_b32_e32 v3, 0
	s_delay_alu instid0(VALU_DEP_3) | instskip(SKIP_2) | instid1(VALU_DEP_3)
	v_sub_nc_u32_e64 v2, 0x79, v5 clamp
	v_cmp_eq_u32_e32 vcc_lo, 0, v5
	v_add_nc_u32_e32 v5, 0xffffff88, v5
	v_cndmask_b32_e64 v12, v2, 0x78, vcc_lo
	v_or_b32_e32 v2, 0x800000, v6
	s_delay_alu instid0(VALU_DEP_1) | instskip(SKIP_1) | instid1(VALU_DEP_2)
	v_dual_cndmask_b32 v2, v2, v6 :: v_dual_add_nc_u32 v7, 20, v12
	v_add_nc_u32_e32 v10, 19, v12
	v_lshlrev_b64_e64 v[6:7], v7, -1
	s_delay_alu instid0(VALU_DEP_3) | instskip(NEXT) | instid1(VALU_DEP_3)
	v_lshrrev_b64 v[8:9], v12, v[2:3]
	v_lshlrev_b64_e64 v[10:11], v10, 1
	s_delay_alu instid0(VALU_DEP_3) | instskip(NEXT) | instid1(VALU_DEP_4)
	v_bfi_b32 v7, v7, 0, 0
	v_bfi_b32 v6, v6, 0, v2
	s_delay_alu instid0(VALU_DEP_4) | instskip(NEXT) | instid1(VALU_DEP_2)
	v_and_b32_e32 v2, 0x100000, v8
	v_cmp_eq_u64_e64 s0, v[6:7], v[10:11]
	s_delay_alu instid0(VALU_DEP_2) | instskip(SKIP_2) | instid1(VALU_DEP_1)
	v_cmp_eq_u64_e64 s1, 0, v[2:3]
	v_cndmask_b32_e64 v2, v5, 0xffffff89, vcc_lo
	v_lshrrev_b32_e32 v5, 23, v8
	v_add3_u32 v5, v2, v12, v5
	s_and_b32 vcc_lo, s1, s0
	s_mov_b32 s0, exec_lo
	v_subrev_co_ci_u32_e64 v6, null, 0, v8, vcc_lo
	s_delay_alu instid0(VALU_DEP_2) | instskip(NEXT) | instid1(VALU_DEP_2)
	v_add_nc_u32_e32 v7, -1, v5
	v_and_b32_e32 v2, 0xfffff, v6
                                        ; implicit-def: $vgpr6
	s_delay_alu instid0(VALU_DEP_1) | instskip(NEXT) | instid1(VALU_DEP_3)
	v_add_nc_u32_e32 v2, v2, v8
	v_cmpx_ne_u32_e32 0, v7
	s_xor_b32 s0, exec_lo, s0
	s_cbranch_execz .LBB76_10
; %bb.9:
	s_delay_alu instid0(VALU_DEP_2) | instskip(SKIP_2) | instid1(VALU_DEP_2)
	v_and_b32_e32 v8, 0x1000000, v2
	v_mov_b32_e32 v9, v3
	v_bfe_u32 v6, v2, 24, 1
	v_cmp_eq_u64_e32 vcc_lo, 0, v[8:9]
	s_delay_alu instid0(VALU_DEP_2)
	v_lshrrev_b64 v[2:3], v6, v[2:3]
	v_cndmask_b32_e32 v6, v5, v7, vcc_lo
.LBB76_10:
	s_and_not1_saveexec_b32 s0, s0
; %bb.11:
	s_delay_alu instid0(VALU_DEP_2)
	v_bfe_u32 v6, v2, 23, 1
; %bb.12:
	s_or_b32 exec_lo, exec_lo, s0
	s_delay_alu instid0(VALU_DEP_3) | instskip(NEXT) | instid1(VALU_DEP_2)
	v_lshrrev_b64 v[2:3], 20, v[2:3]
	v_cmp_gt_i32_e32 vcc_lo, 16, v6
	v_cmp_ne_u32_e64 s0, 0, v6
                                        ; implicit-def: $vgpr5
	s_delay_alu instid0(VALU_DEP_3) | instskip(NEXT) | instid1(VALU_DEP_1)
	v_dual_cndmask_b32 v3, 0, v3 :: v_dual_cndmask_b32 v2, 7, v2
	v_cmp_ne_u64_e32 vcc_lo, 0, v[2:3]
	s_or_b32 s0, s0, vcc_lo
	s_delay_alu instid0(SALU_CYCLE_1) | instskip(NEXT) | instid1(SALU_CYCLE_1)
	s_and_saveexec_b32 s1, s0
	s_xor_b32 s0, exec_lo, s1
; %bb.13:
	v_min_i32_e32 v3, 15, v6
	s_delay_alu instid0(VALU_DEP_1) | instskip(NEXT) | instid1(VALU_DEP_1)
	v_lshl_or_b32 v3, v3, 3, v4
                                        ; implicit-def: $vgpr4
	v_and_or_b32 v5, v2, 7, v3
; %bb.14:
	s_and_not1_saveexec_b32 s0, s0
; %bb.15:
	v_mov_b32_e32 v5, v4
; %bb.16:
	s_or_b32 exec_lo, exec_lo, s0
.LBB76_17:
	s_delay_alu instid0(SALU_CYCLE_1)
	s_or_b32 exec_lo, exec_lo, s6
                                        ; implicit-def: $vgpr4
.LBB76_18:
	s_and_not1_saveexec_b32 s0, s3
; %bb.19:
	v_or_b32_e32 v5, 0x7e, v4
; %bb.20:
	s_or_b32 exec_lo, exec_lo, s0
                                        ; implicit-def: $vgpr4
.LBB76_21:
	s_and_not1_saveexec_b32 s0, s2
; %bb.22:
	v_or_b32_e32 v5, 0x7f, v4
; %bb.23:
	s_or_b32 exec_lo, exec_lo, s0
	v_add_nc_u64_e32 v[0:1], s[4:5], v[0:1]
	global_store_b8 v[0:1], v5, off
.LBB76_24:
	s_endpgm
	.section	.rodata,"a",@progbits
	.p2align	6, 0x0
	.amdhsa_kernel _Z11fill_kernelI12hipblaslt_f8Z21hipblaslt_init_deviceIS0_Ev8ABC_dims24hipblaslt_initializationbPT_mmmmmEUlmE9_EvS5_mmT0_
		.amdhsa_group_segment_fixed_size 0
		.amdhsa_private_segment_fixed_size 0
		.amdhsa_kernarg_size 288
		.amdhsa_user_sgpr_count 2
		.amdhsa_user_sgpr_dispatch_ptr 0
		.amdhsa_user_sgpr_queue_ptr 0
		.amdhsa_user_sgpr_kernarg_segment_ptr 1
		.amdhsa_user_sgpr_dispatch_id 0
		.amdhsa_user_sgpr_kernarg_preload_length 0
		.amdhsa_user_sgpr_kernarg_preload_offset 0
		.amdhsa_user_sgpr_private_segment_size 0
		.amdhsa_wavefront_size32 1
		.amdhsa_uses_dynamic_stack 0
		.amdhsa_enable_private_segment 0
		.amdhsa_system_sgpr_workgroup_id_x 1
		.amdhsa_system_sgpr_workgroup_id_y 0
		.amdhsa_system_sgpr_workgroup_id_z 0
		.amdhsa_system_sgpr_workgroup_info 0
		.amdhsa_system_vgpr_workitem_id 0
		.amdhsa_next_free_vgpr 22
		.amdhsa_next_free_sgpr 10
		.amdhsa_named_barrier_count 0
		.amdhsa_reserve_vcc 1
		.amdhsa_float_round_mode_32 0
		.amdhsa_float_round_mode_16_64 0
		.amdhsa_float_denorm_mode_32 3
		.amdhsa_float_denorm_mode_16_64 3
		.amdhsa_fp16_overflow 0
		.amdhsa_memory_ordered 1
		.amdhsa_forward_progress 1
		.amdhsa_inst_pref_size 17
		.amdhsa_round_robin_scheduling 0
		.amdhsa_exception_fp_ieee_invalid_op 0
		.amdhsa_exception_fp_denorm_src 0
		.amdhsa_exception_fp_ieee_div_zero 0
		.amdhsa_exception_fp_ieee_overflow 0
		.amdhsa_exception_fp_ieee_underflow 0
		.amdhsa_exception_fp_ieee_inexact 0
		.amdhsa_exception_int_div_zero 0
	.end_amdhsa_kernel
	.section	.text._Z11fill_kernelI12hipblaslt_f8Z21hipblaslt_init_deviceIS0_Ev8ABC_dims24hipblaslt_initializationbPT_mmmmmEUlmE9_EvS5_mmT0_,"axG",@progbits,_Z11fill_kernelI12hipblaslt_f8Z21hipblaslt_init_deviceIS0_Ev8ABC_dims24hipblaslt_initializationbPT_mmmmmEUlmE9_EvS5_mmT0_,comdat
.Lfunc_end76:
	.size	_Z11fill_kernelI12hipblaslt_f8Z21hipblaslt_init_deviceIS0_Ev8ABC_dims24hipblaslt_initializationbPT_mmmmmEUlmE9_EvS5_mmT0_, .Lfunc_end76-_Z11fill_kernelI12hipblaslt_f8Z21hipblaslt_init_deviceIS0_Ev8ABC_dims24hipblaslt_initializationbPT_mmmmmEUlmE9_EvS5_mmT0_
                                        ; -- End function
	.set _Z11fill_kernelI12hipblaslt_f8Z21hipblaslt_init_deviceIS0_Ev8ABC_dims24hipblaslt_initializationbPT_mmmmmEUlmE9_EvS5_mmT0_.num_vgpr, 22
	.set _Z11fill_kernelI12hipblaslt_f8Z21hipblaslt_init_deviceIS0_Ev8ABC_dims24hipblaslt_initializationbPT_mmmmmEUlmE9_EvS5_mmT0_.num_agpr, 0
	.set _Z11fill_kernelI12hipblaslt_f8Z21hipblaslt_init_deviceIS0_Ev8ABC_dims24hipblaslt_initializationbPT_mmmmmEUlmE9_EvS5_mmT0_.numbered_sgpr, 10
	.set _Z11fill_kernelI12hipblaslt_f8Z21hipblaslt_init_deviceIS0_Ev8ABC_dims24hipblaslt_initializationbPT_mmmmmEUlmE9_EvS5_mmT0_.num_named_barrier, 0
	.set _Z11fill_kernelI12hipblaslt_f8Z21hipblaslt_init_deviceIS0_Ev8ABC_dims24hipblaslt_initializationbPT_mmmmmEUlmE9_EvS5_mmT0_.private_seg_size, 0
	.set _Z11fill_kernelI12hipblaslt_f8Z21hipblaslt_init_deviceIS0_Ev8ABC_dims24hipblaslt_initializationbPT_mmmmmEUlmE9_EvS5_mmT0_.uses_vcc, 1
	.set _Z11fill_kernelI12hipblaslt_f8Z21hipblaslt_init_deviceIS0_Ev8ABC_dims24hipblaslt_initializationbPT_mmmmmEUlmE9_EvS5_mmT0_.uses_flat_scratch, 0
	.set _Z11fill_kernelI12hipblaslt_f8Z21hipblaslt_init_deviceIS0_Ev8ABC_dims24hipblaslt_initializationbPT_mmmmmEUlmE9_EvS5_mmT0_.has_dyn_sized_stack, 0
	.set _Z11fill_kernelI12hipblaslt_f8Z21hipblaslt_init_deviceIS0_Ev8ABC_dims24hipblaslt_initializationbPT_mmmmmEUlmE9_EvS5_mmT0_.has_recursion, 0
	.set _Z11fill_kernelI12hipblaslt_f8Z21hipblaslt_init_deviceIS0_Ev8ABC_dims24hipblaslt_initializationbPT_mmmmmEUlmE9_EvS5_mmT0_.has_indirect_call, 0
	.section	.AMDGPU.csdata,"",@progbits
; Kernel info:
; codeLenInByte = 2124
; TotalNumSgprs: 12
; NumVgprs: 22
; ScratchSize: 0
; MemoryBound: 0
; FloatMode: 240
; IeeeMode: 1
; LDSByteSize: 0 bytes/workgroup (compile time only)
; SGPRBlocks: 0
; VGPRBlocks: 1
; NumSGPRsForWavesPerEU: 12
; NumVGPRsForWavesPerEU: 22
; NamedBarCnt: 0
; Occupancy: 16
; WaveLimiterHint : 0
; COMPUTE_PGM_RSRC2:SCRATCH_EN: 0
; COMPUTE_PGM_RSRC2:USER_SGPR: 2
; COMPUTE_PGM_RSRC2:TRAP_HANDLER: 0
; COMPUTE_PGM_RSRC2:TGID_X_EN: 1
; COMPUTE_PGM_RSRC2:TGID_Y_EN: 0
; COMPUTE_PGM_RSRC2:TGID_Z_EN: 0
; COMPUTE_PGM_RSRC2:TIDIG_COMP_CNT: 0
	.section	.text._Z11fill_kernelI13hipblaslt_bf8Z21hipblaslt_init_deviceIS0_Ev8ABC_dims24hipblaslt_initializationbPT_mmmmmEUlmE_EvS5_mmT0_,"axG",@progbits,_Z11fill_kernelI13hipblaslt_bf8Z21hipblaslt_init_deviceIS0_Ev8ABC_dims24hipblaslt_initializationbPT_mmmmmEUlmE_EvS5_mmT0_,comdat
	.protected	_Z11fill_kernelI13hipblaslt_bf8Z21hipblaslt_init_deviceIS0_Ev8ABC_dims24hipblaslt_initializationbPT_mmmmmEUlmE_EvS5_mmT0_ ; -- Begin function _Z11fill_kernelI13hipblaslt_bf8Z21hipblaslt_init_deviceIS0_Ev8ABC_dims24hipblaslt_initializationbPT_mmmmmEUlmE_EvS5_mmT0_
	.globl	_Z11fill_kernelI13hipblaslt_bf8Z21hipblaslt_init_deviceIS0_Ev8ABC_dims24hipblaslt_initializationbPT_mmmmmEUlmE_EvS5_mmT0_
	.p2align	8
	.type	_Z11fill_kernelI13hipblaslt_bf8Z21hipblaslt_init_deviceIS0_Ev8ABC_dims24hipblaslt_initializationbPT_mmmmmEUlmE_EvS5_mmT0_,@function
_Z11fill_kernelI13hipblaslt_bf8Z21hipblaslt_init_deviceIS0_Ev8ABC_dims24hipblaslt_initializationbPT_mmmmmEUlmE_EvS5_mmT0_: ; @_Z11fill_kernelI13hipblaslt_bf8Z21hipblaslt_init_deviceIS0_Ev8ABC_dims24hipblaslt_initializationbPT_mmmmmEUlmE_EvS5_mmT0_
; %bb.0:
	s_clause 0x1
	s_load_b32 s2, s[0:1], 0x8c
	s_load_b128 s[4:7], s[0:1], 0x0
	s_bfe_u32 s3, ttmp6, 0x4000c
	s_and_b32 s8, ttmp6, 15
	s_add_co_i32 s3, s3, 1
	s_getreg_b32 s9, hwreg(HW_REG_IB_STS2, 6, 4)
	s_mul_i32 s3, ttmp9, s3
	v_mov_b32_e32 v1, 0
	s_add_co_i32 s8, s8, s3
	s_wait_kmcnt 0x0
	s_and_b32 s2, s2, 0xffff
	s_cmp_eq_u32 s9, 0
	s_cselect_b32 s3, ttmp9, s8
	s_delay_alu instid0(SALU_CYCLE_1) | instskip(SKIP_1) | instid1(VALU_DEP_1)
	v_mad_u32 v0, s3, s2, v0
	s_mov_b32 s2, exec_lo
	v_cmpx_gt_u64_e64 s[6:7], v[0:1]
	s_cbranch_execz .LBB77_2
; %bb.1:
	s_load_b64 s[2:3], s[0:1], 0x10
	s_wait_kmcnt 0x0
	v_add_nc_u64_e32 v[0:1], s[2:3], v[0:1]
	s_mov_b32 s2, 0x19660d
	s_delay_alu instid0(VALU_DEP_1) | instid1(SALU_CYCLE_1)
	v_mad_nc_u64_u32 v[2:3], v0, s2, 0x3c6ef35f
	s_delay_alu instid0(VALU_DEP_1) | instskip(SKIP_1) | instid1(VALU_DEP_2)
	v_mad_u32 v3, 0x19660d, v1, v3
	v_add_nc_u64_e32 v[0:1], s[4:5], v[0:1]
	v_lshlrev_b64_e32 v[4:5], 13, v[2:3]
	s_delay_alu instid0(VALU_DEP_1) | instskip(NEXT) | instid1(VALU_DEP_2)
	v_xor_b32_e32 v3, v5, v3
	v_xor_b32_e32 v2, v4, v2
	s_delay_alu instid0(VALU_DEP_1) | instskip(NEXT) | instid1(VALU_DEP_1)
	v_lshrrev_b64 v[4:5], 17, v[2:3]
	v_xor_b32_e32 v3, v5, v3
	s_delay_alu instid0(VALU_DEP_2) | instskip(NEXT) | instid1(VALU_DEP_1)
	v_xor_b32_e32 v2, v4, v2
	v_lshlrev_b64_e32 v[4:5], 5, v[2:3]
	s_delay_alu instid0(VALU_DEP_1) | instskip(NEXT) | instid1(VALU_DEP_2)
	v_xor_b32_e32 v3, v5, v3
	v_xor_b32_e32 v2, v4, v2
	s_delay_alu instid0(VALU_DEP_1) | instskip(NEXT) | instid1(VALU_DEP_1)
	v_lshlrev_b64_e32 v[4:5], 13, v[2:3]
	v_xor_b32_e32 v3, v5, v3
	s_delay_alu instid0(VALU_DEP_2) | instskip(NEXT) | instid1(VALU_DEP_1)
	v_xor_b32_e32 v2, v4, v2
	v_lshrrev_b64 v[4:5], 17, v[2:3]
	s_delay_alu instid0(VALU_DEP_1) | instskip(NEXT) | instid1(VALU_DEP_2)
	v_xor_b32_e32 v3, v5, v3
	v_xor_b32_e32 v2, v4, v2
	s_delay_alu instid0(VALU_DEP_1) | instskip(NEXT) | instid1(VALU_DEP_1)
	v_lshlrev_b64_e32 v[4:5], 5, v[2:3]
	v_xor_b32_e32 v3, v5, v3
	s_delay_alu instid0(VALU_DEP_2) | instskip(NEXT) | instid1(VALU_DEP_1)
	v_xor_b32_e32 v2, v4, v2
	v_lshlrev_b64_e32 v[4:5], 13, v[2:3]
	s_delay_alu instid0(VALU_DEP_1) | instskip(NEXT) | instid1(VALU_DEP_2)
	v_xor_b32_e32 v3, v5, v3
	v_xor_b32_e32 v2, v4, v2
	s_delay_alu instid0(VALU_DEP_1) | instskip(NEXT) | instid1(VALU_DEP_1)
	v_alignbit_b32 v3, v3, v2, 17
	v_xor_b32_e32 v2, v3, v2
	s_delay_alu instid0(VALU_DEP_1) | instskip(NEXT) | instid1(VALU_DEP_1)
	v_lshlrev_b32_e32 v3, 5, v2
	v_xor_b32_e32 v2, v3, v2
	s_delay_alu instid0(VALU_DEP_1) | instskip(NEXT) | instid1(VALU_DEP_1)
	v_mul_hi_u32 v3, 0x51eb851f, v2
	v_lshrrev_b32_e32 v3, 5, v3
	s_delay_alu instid0(VALU_DEP_1) | instskip(NEXT) | instid1(VALU_DEP_1)
	v_mul_lo_u32 v3, 0x64, v3
	v_sub_nc_u32_e32 v2, v2, v3
	global_load_u8 v2, v2, s[0:1] offset:24
	s_wait_loadcnt 0x0
	global_store_b8 v[0:1], v2, off
.LBB77_2:
	s_endpgm
	.section	.rodata,"a",@progbits
	.p2align	6, 0x0
	.amdhsa_kernel _Z11fill_kernelI13hipblaslt_bf8Z21hipblaslt_init_deviceIS0_Ev8ABC_dims24hipblaslt_initializationbPT_mmmmmEUlmE_EvS5_mmT0_
		.amdhsa_group_segment_fixed_size 0
		.amdhsa_private_segment_fixed_size 0
		.amdhsa_kernarg_size 384
		.amdhsa_user_sgpr_count 2
		.amdhsa_user_sgpr_dispatch_ptr 0
		.amdhsa_user_sgpr_queue_ptr 0
		.amdhsa_user_sgpr_kernarg_segment_ptr 1
		.amdhsa_user_sgpr_dispatch_id 0
		.amdhsa_user_sgpr_kernarg_preload_length 0
		.amdhsa_user_sgpr_kernarg_preload_offset 0
		.amdhsa_user_sgpr_private_segment_size 0
		.amdhsa_wavefront_size32 1
		.amdhsa_uses_dynamic_stack 0
		.amdhsa_enable_private_segment 0
		.amdhsa_system_sgpr_workgroup_id_x 1
		.amdhsa_system_sgpr_workgroup_id_y 0
		.amdhsa_system_sgpr_workgroup_id_z 0
		.amdhsa_system_sgpr_workgroup_info 0
		.amdhsa_system_vgpr_workitem_id 0
		.amdhsa_next_free_vgpr 6
		.amdhsa_next_free_sgpr 10
		.amdhsa_named_barrier_count 0
		.amdhsa_reserve_vcc 0
		.amdhsa_float_round_mode_32 0
		.amdhsa_float_round_mode_16_64 0
		.amdhsa_float_denorm_mode_32 3
		.amdhsa_float_denorm_mode_16_64 3
		.amdhsa_fp16_overflow 0
		.amdhsa_memory_ordered 1
		.amdhsa_forward_progress 1
		.amdhsa_inst_pref_size 4
		.amdhsa_round_robin_scheduling 0
		.amdhsa_exception_fp_ieee_invalid_op 0
		.amdhsa_exception_fp_denorm_src 0
		.amdhsa_exception_fp_ieee_div_zero 0
		.amdhsa_exception_fp_ieee_overflow 0
		.amdhsa_exception_fp_ieee_underflow 0
		.amdhsa_exception_fp_ieee_inexact 0
		.amdhsa_exception_int_div_zero 0
	.end_amdhsa_kernel
	.section	.text._Z11fill_kernelI13hipblaslt_bf8Z21hipblaslt_init_deviceIS0_Ev8ABC_dims24hipblaslt_initializationbPT_mmmmmEUlmE_EvS5_mmT0_,"axG",@progbits,_Z11fill_kernelI13hipblaslt_bf8Z21hipblaslt_init_deviceIS0_Ev8ABC_dims24hipblaslt_initializationbPT_mmmmmEUlmE_EvS5_mmT0_,comdat
.Lfunc_end77:
	.size	_Z11fill_kernelI13hipblaslt_bf8Z21hipblaslt_init_deviceIS0_Ev8ABC_dims24hipblaslt_initializationbPT_mmmmmEUlmE_EvS5_mmT0_, .Lfunc_end77-_Z11fill_kernelI13hipblaslt_bf8Z21hipblaslt_init_deviceIS0_Ev8ABC_dims24hipblaslt_initializationbPT_mmmmmEUlmE_EvS5_mmT0_
                                        ; -- End function
	.set _Z11fill_kernelI13hipblaslt_bf8Z21hipblaslt_init_deviceIS0_Ev8ABC_dims24hipblaslt_initializationbPT_mmmmmEUlmE_EvS5_mmT0_.num_vgpr, 6
	.set _Z11fill_kernelI13hipblaslt_bf8Z21hipblaslt_init_deviceIS0_Ev8ABC_dims24hipblaslt_initializationbPT_mmmmmEUlmE_EvS5_mmT0_.num_agpr, 0
	.set _Z11fill_kernelI13hipblaslt_bf8Z21hipblaslt_init_deviceIS0_Ev8ABC_dims24hipblaslt_initializationbPT_mmmmmEUlmE_EvS5_mmT0_.numbered_sgpr, 10
	.set _Z11fill_kernelI13hipblaslt_bf8Z21hipblaslt_init_deviceIS0_Ev8ABC_dims24hipblaslt_initializationbPT_mmmmmEUlmE_EvS5_mmT0_.num_named_barrier, 0
	.set _Z11fill_kernelI13hipblaslt_bf8Z21hipblaslt_init_deviceIS0_Ev8ABC_dims24hipblaslt_initializationbPT_mmmmmEUlmE_EvS5_mmT0_.private_seg_size, 0
	.set _Z11fill_kernelI13hipblaslt_bf8Z21hipblaslt_init_deviceIS0_Ev8ABC_dims24hipblaslt_initializationbPT_mmmmmEUlmE_EvS5_mmT0_.uses_vcc, 0
	.set _Z11fill_kernelI13hipblaslt_bf8Z21hipblaslt_init_deviceIS0_Ev8ABC_dims24hipblaslt_initializationbPT_mmmmmEUlmE_EvS5_mmT0_.uses_flat_scratch, 0
	.set _Z11fill_kernelI13hipblaslt_bf8Z21hipblaslt_init_deviceIS0_Ev8ABC_dims24hipblaslt_initializationbPT_mmmmmEUlmE_EvS5_mmT0_.has_dyn_sized_stack, 0
	.set _Z11fill_kernelI13hipblaslt_bf8Z21hipblaslt_init_deviceIS0_Ev8ABC_dims24hipblaslt_initializationbPT_mmmmmEUlmE_EvS5_mmT0_.has_recursion, 0
	.set _Z11fill_kernelI13hipblaslt_bf8Z21hipblaslt_init_deviceIS0_Ev8ABC_dims24hipblaslt_initializationbPT_mmmmmEUlmE_EvS5_mmT0_.has_indirect_call, 0
	.section	.AMDGPU.csdata,"",@progbits
; Kernel info:
; codeLenInByte = 392
; TotalNumSgprs: 10
; NumVgprs: 6
; ScratchSize: 0
; MemoryBound: 0
; FloatMode: 240
; IeeeMode: 1
; LDSByteSize: 0 bytes/workgroup (compile time only)
; SGPRBlocks: 0
; VGPRBlocks: 0
; NumSGPRsForWavesPerEU: 10
; NumVGPRsForWavesPerEU: 6
; NamedBarCnt: 0
; Occupancy: 16
; WaveLimiterHint : 0
; COMPUTE_PGM_RSRC2:SCRATCH_EN: 0
; COMPUTE_PGM_RSRC2:USER_SGPR: 2
; COMPUTE_PGM_RSRC2:TRAP_HANDLER: 0
; COMPUTE_PGM_RSRC2:TGID_X_EN: 1
; COMPUTE_PGM_RSRC2:TGID_Y_EN: 0
; COMPUTE_PGM_RSRC2:TGID_Z_EN: 0
; COMPUTE_PGM_RSRC2:TIDIG_COMP_CNT: 0
	.section	.text._Z11fill_kernelI13hipblaslt_bf8Z21hipblaslt_init_deviceIS0_Ev8ABC_dims24hipblaslt_initializationbPT_mmmmmEUlmE0_EvS5_mmT0_,"axG",@progbits,_Z11fill_kernelI13hipblaslt_bf8Z21hipblaslt_init_deviceIS0_Ev8ABC_dims24hipblaslt_initializationbPT_mmmmmEUlmE0_EvS5_mmT0_,comdat
	.protected	_Z11fill_kernelI13hipblaslt_bf8Z21hipblaslt_init_deviceIS0_Ev8ABC_dims24hipblaslt_initializationbPT_mmmmmEUlmE0_EvS5_mmT0_ ; -- Begin function _Z11fill_kernelI13hipblaslt_bf8Z21hipblaslt_init_deviceIS0_Ev8ABC_dims24hipblaslt_initializationbPT_mmmmmEUlmE0_EvS5_mmT0_
	.globl	_Z11fill_kernelI13hipblaslt_bf8Z21hipblaslt_init_deviceIS0_Ev8ABC_dims24hipblaslt_initializationbPT_mmmmmEUlmE0_EvS5_mmT0_
	.p2align	8
	.type	_Z11fill_kernelI13hipblaslt_bf8Z21hipblaslt_init_deviceIS0_Ev8ABC_dims24hipblaslt_initializationbPT_mmmmmEUlmE0_EvS5_mmT0_,@function
_Z11fill_kernelI13hipblaslt_bf8Z21hipblaslt_init_deviceIS0_Ev8ABC_dims24hipblaslt_initializationbPT_mmmmmEUlmE0_EvS5_mmT0_: ; @_Z11fill_kernelI13hipblaslt_bf8Z21hipblaslt_init_deviceIS0_Ev8ABC_dims24hipblaslt_initializationbPT_mmmmmEUlmE0_EvS5_mmT0_
; %bb.0:
	s_clause 0x1
	s_load_b32 s2, s[0:1], 0x2c
	s_load_b128 s[4:7], s[0:1], 0x0
	s_bfe_u32 s3, ttmp6, 0x4000c
	s_and_b32 s8, ttmp6, 15
	s_add_co_i32 s3, s3, 1
	s_getreg_b32 s9, hwreg(HW_REG_IB_STS2, 6, 4)
	s_mul_i32 s3, ttmp9, s3
	v_mov_b32_e32 v3, 0
	s_add_co_i32 s8, s8, s3
	s_wait_kmcnt 0x0
	s_and_b32 s2, s2, 0xffff
	s_cmp_eq_u32 s9, 0
	s_cselect_b32 s3, ttmp9, s8
	s_delay_alu instid0(SALU_CYCLE_1) | instskip(SKIP_1) | instid1(VALU_DEP_1)
	v_mad_u32 v2, s3, s2, v0
	s_mov_b32 s2, exec_lo
	v_cmpx_gt_u64_e64 s[6:7], v[2:3]
	s_cbranch_execz .LBB78_12
; %bb.1:
	s_load_b64 s[0:1], s[0:1], 0x10
	s_wait_kmcnt 0x0
	v_add_nc_u64_e32 v[0:1], s[0:1], v[2:3]
	s_mov_b32 s0, 0x19660d
	s_delay_alu instid0(VALU_DEP_1) | instid1(SALU_CYCLE_1)
	v_mad_nc_u64_u32 v[4:5], v0, s0, 0x3c6ef35f
	s_delay_alu instid0(VALU_DEP_1) | instskip(NEXT) | instid1(VALU_DEP_1)
	v_mad_u32 v5, 0x19660d, v1, v5
	v_lshlrev_b64_e32 v[6:7], 13, v[4:5]
	s_delay_alu instid0(VALU_DEP_1) | instskip(NEXT) | instid1(VALU_DEP_2)
	v_xor_b32_e32 v5, v7, v5
	v_xor_b32_e32 v4, v6, v4
	s_delay_alu instid0(VALU_DEP_1) | instskip(NEXT) | instid1(VALU_DEP_1)
	v_lshrrev_b64 v[6:7], 17, v[4:5]
	v_xor_b32_e32 v5, v7, v5
	s_delay_alu instid0(VALU_DEP_2) | instskip(NEXT) | instid1(VALU_DEP_1)
	v_xor_b32_e32 v4, v6, v4
	v_lshlrev_b64_e32 v[6:7], 5, v[4:5]
	s_delay_alu instid0(VALU_DEP_1) | instskip(NEXT) | instid1(VALU_DEP_2)
	v_xor_b32_e32 v5, v7, v5
	v_xor_b32_e32 v4, v6, v4
	s_delay_alu instid0(VALU_DEP_1) | instskip(NEXT) | instid1(VALU_DEP_1)
	v_lshlrev_b64_e32 v[6:7], 13, v[4:5]
	v_xor_b32_e32 v5, v7, v5
	s_delay_alu instid0(VALU_DEP_2) | instskip(NEXT) | instid1(VALU_DEP_1)
	v_xor_b32_e32 v4, v6, v4
	v_lshrrev_b64 v[6:7], 17, v[4:5]
	s_delay_alu instid0(VALU_DEP_1) | instskip(NEXT) | instid1(VALU_DEP_2)
	v_xor_b32_e32 v5, v7, v5
	v_xor_b32_e32 v4, v6, v4
	s_delay_alu instid0(VALU_DEP_1) | instskip(NEXT) | instid1(VALU_DEP_1)
	v_lshlrev_b64_e32 v[6:7], 5, v[4:5]
	v_xor_b32_e32 v5, v7, v5
	s_delay_alu instid0(VALU_DEP_2) | instskip(NEXT) | instid1(VALU_DEP_1)
	v_xor_b32_e32 v4, v6, v4
	v_lshlrev_b64_e32 v[6:7], 13, v[4:5]
	s_delay_alu instid0(VALU_DEP_1) | instskip(NEXT) | instid1(VALU_DEP_2)
	v_xor_b32_e32 v2, v7, v5
	v_xor_b32_e32 v4, v6, v4
	s_delay_alu instid0(VALU_DEP_1) | instskip(NEXT) | instid1(VALU_DEP_1)
	v_alignbit_b32 v2, v2, v4, 17
	v_xor_b32_e32 v2, v2, v4
	s_delay_alu instid0(VALU_DEP_1) | instskip(NEXT) | instid1(VALU_DEP_1)
	v_lshlrev_b32_e32 v4, 5, v2
	v_xor_b32_e32 v2, v4, v2
	s_delay_alu instid0(VALU_DEP_1) | instskip(NEXT) | instid1(VALU_DEP_1)
	v_mul_hi_u32 v4, 0xcccccccd, v2
	v_lshrrev_b32_e32 v4, 3, v4
	s_delay_alu instid0(VALU_DEP_1) | instskip(NEXT) | instid1(VALU_DEP_1)
	v_mul_lo_u32 v4, v4, 10
	v_sub_nc_u32_e32 v2, v2, v4
	s_delay_alu instid0(VALU_DEP_1) | instskip(NEXT) | instid1(VALU_DEP_1)
	v_add_nc_u32_e32 v2, 1, v2
	v_cvt_f32_u32_e32 v5, v2
	s_delay_alu instid0(VALU_DEP_1) | instskip(SKIP_1) | instid1(VALU_DEP_2)
	v_and_b32_e32 v4, 0x7f800000, v5
	v_and_b32_e32 v2, 0x7fffff, v5
	v_cmp_ne_u32_e32 vcc_lo, 0x7f800000, v4
                                        ; implicit-def: $vgpr4
	s_and_saveexec_b32 s0, vcc_lo
	s_delay_alu instid0(SALU_CYCLE_1)
	s_xor_b32 s2, exec_lo, s0
	s_cbranch_execz .LBB78_9
; %bb.2:
	v_mov_b32_e32 v4, 0x7b
	s_mov_b32 s3, exec_lo
	v_cmpx_gt_u32_e32 0x47600001, v5
	s_cbranch_execz .LBB78_8
; %bb.3:
	v_or_b32_e32 v6, 0x800000, v2
	v_cmp_gt_u32_e32 vcc_lo, 0x800000, v5
	s_delay_alu instid0(VALU_DEP_2) | instskip(NEXT) | instid1(VALU_DEP_1)
	v_dual_lshrrev_b32 v12, 23, v5 :: v_dual_cndmask_b32 v2, v6, v2, vcc_lo
	v_sub_nc_u32_e64 v4, 0x71, v12 clamp
	v_mov_b32_e32 v5, 0
	s_delay_alu instid0(VALU_DEP_2) | instskip(NEXT) | instid1(VALU_DEP_1)
	v_cndmask_b32_e64 v13, v4, 0x70, vcc_lo
	v_dual_add_nc_u32 v4, 21, v13 :: v_dual_add_nc_u32 v10, 20, v13
	v_lshrrev_b64 v[8:9], v13, v[2:3]
	s_delay_alu instid0(VALU_DEP_2) | instskip(NEXT) | instid1(VALU_DEP_3)
	v_lshlrev_b64_e64 v[6:7], v4, -1
	v_lshlrev_b64_e64 v[10:11], v10, 1
	s_delay_alu instid0(VALU_DEP_3) | instskip(NEXT) | instid1(VALU_DEP_3)
	v_and_b32_e32 v4, 0x200000, v8
	v_bfi_b32 v3, v7, 0, 0
	s_delay_alu instid0(VALU_DEP_4) | instskip(SKIP_1) | instid1(VALU_DEP_4)
	v_bfi_b32 v2, v6, 0, v2
	v_add_nc_u32_e32 v6, 0xffffff90, v12
	v_cmp_eq_u64_e64 s0, 0, v[4:5]
	s_delay_alu instid0(VALU_DEP_3) | instskip(NEXT) | instid1(VALU_DEP_3)
	v_cmp_eq_u64_e64 s1, v[2:3], v[10:11]
	v_cndmask_b32_e64 v2, v6, 0xffffff91, vcc_lo
	v_lshrrev_b32_e32 v3, 23, v8
	s_delay_alu instid0(VALU_DEP_1) | instskip(SKIP_3) | instid1(VALU_DEP_2)
	v_add3_u32 v3, v2, v13, v3
	s_and_b32 vcc_lo, s0, s1
	s_mov_b32 s0, exec_lo
	v_subrev_co_ci_u32_e64 v4, null, 0, v8, vcc_lo
	v_add_nc_u32_e32 v6, -1, v3
	s_delay_alu instid0(VALU_DEP_2) | instskip(NEXT) | instid1(VALU_DEP_1)
	v_and_b32_e32 v2, 0x1fffff, v4
	v_add_nc_u32_e32 v4, v2, v8
                                        ; implicit-def: $vgpr2
	s_delay_alu instid0(VALU_DEP_3)
	v_cmpx_ne_u32_e32 0, v6
	s_xor_b32 s0, exec_lo, s0
	s_cbranch_execz .LBB78_5
; %bb.4:
	s_delay_alu instid0(VALU_DEP_2) | instskip(SKIP_2) | instid1(VALU_DEP_2)
	v_and_b32_e32 v8, 0x1000000, v4
	v_mov_b32_e32 v9, v5
	v_bfe_u32 v2, v4, 24, 1
	v_cmp_eq_u64_e32 vcc_lo, 0, v[8:9]
	s_delay_alu instid0(VALU_DEP_2)
	v_lshrrev_b64 v[4:5], v2, v[4:5]
	v_cndmask_b32_e32 v2, v3, v6, vcc_lo
.LBB78_5:
	s_and_not1_saveexec_b32 s0, s0
; %bb.6:
	s_delay_alu instid0(VALU_DEP_2)
	v_bfe_u32 v2, v4, 23, 1
; %bb.7:
	s_or_b32 exec_lo, exec_lo, s0
	s_delay_alu instid0(VALU_DEP_3) | instskip(NEXT) | instid1(VALU_DEP_2)
	v_lshrrev_b64 v[4:5], 21, v[4:5]
	v_cmp_gt_i32_e32 vcc_lo, 32, v2
	v_min_i32_e32 v3, 31, v2
	v_cmp_eq_u32_e64 s0, 0, v2
	s_delay_alu instid0(VALU_DEP_4) | instskip(NEXT) | instid1(VALU_DEP_3)
	v_dual_cndmask_b32 v5, 0, v5 :: v_dual_cndmask_b32 v4, 3, v4
	v_lshlrev_b32_e32 v3, 2, v3
	s_delay_alu instid0(VALU_DEP_2) | instskip(NEXT) | instid1(VALU_DEP_2)
	v_cmp_eq_u64_e32 vcc_lo, 0, v[4:5]
	v_and_or_b32 v2, v4, 3, v3
	s_and_b32 s0, s0, vcc_lo
	s_delay_alu instid0(VALU_DEP_1) | instid1(SALU_CYCLE_1)
	v_cndmask_b32_e64 v4, v2, 0, s0
.LBB78_8:
	s_or_b32 exec_lo, exec_lo, s3
                                        ; implicit-def: $vgpr2_vgpr3
.LBB78_9:
	s_and_not1_saveexec_b32 s0, s2
; %bb.10:
	v_cmp_eq_u64_e32 vcc_lo, 0, v[2:3]
	v_mov_b32_e32 v4, 0x7c
	s_delay_alu instid0(VALU_DEP_1)
	v_cndmask_b32_e32 v4, 0x7f, v4, vcc_lo
; %bb.11:
	s_or_b32 exec_lo, exec_lo, s0
	v_add_nc_u64_e32 v[0:1], s[4:5], v[0:1]
	global_store_b8 v[0:1], v4, off
.LBB78_12:
	s_endpgm
	.section	.rodata,"a",@progbits
	.p2align	6, 0x0
	.amdhsa_kernel _Z11fill_kernelI13hipblaslt_bf8Z21hipblaslt_init_deviceIS0_Ev8ABC_dims24hipblaslt_initializationbPT_mmmmmEUlmE0_EvS5_mmT0_
		.amdhsa_group_segment_fixed_size 0
		.amdhsa_private_segment_fixed_size 0
		.amdhsa_kernarg_size 288
		.amdhsa_user_sgpr_count 2
		.amdhsa_user_sgpr_dispatch_ptr 0
		.amdhsa_user_sgpr_queue_ptr 0
		.amdhsa_user_sgpr_kernarg_segment_ptr 1
		.amdhsa_user_sgpr_dispatch_id 0
		.amdhsa_user_sgpr_kernarg_preload_length 0
		.amdhsa_user_sgpr_kernarg_preload_offset 0
		.amdhsa_user_sgpr_private_segment_size 0
		.amdhsa_wavefront_size32 1
		.amdhsa_uses_dynamic_stack 0
		.amdhsa_enable_private_segment 0
		.amdhsa_system_sgpr_workgroup_id_x 1
		.amdhsa_system_sgpr_workgroup_id_y 0
		.amdhsa_system_sgpr_workgroup_id_z 0
		.amdhsa_system_sgpr_workgroup_info 0
		.amdhsa_system_vgpr_workitem_id 0
		.amdhsa_next_free_vgpr 14
		.amdhsa_next_free_sgpr 10
		.amdhsa_named_barrier_count 0
		.amdhsa_reserve_vcc 1
		.amdhsa_float_round_mode_32 0
		.amdhsa_float_round_mode_16_64 0
		.amdhsa_float_denorm_mode_32 3
		.amdhsa_float_denorm_mode_16_64 3
		.amdhsa_fp16_overflow 0
		.amdhsa_memory_ordered 1
		.amdhsa_forward_progress 1
		.amdhsa_inst_pref_size 7
		.amdhsa_round_robin_scheduling 0
		.amdhsa_exception_fp_ieee_invalid_op 0
		.amdhsa_exception_fp_denorm_src 0
		.amdhsa_exception_fp_ieee_div_zero 0
		.amdhsa_exception_fp_ieee_overflow 0
		.amdhsa_exception_fp_ieee_underflow 0
		.amdhsa_exception_fp_ieee_inexact 0
		.amdhsa_exception_int_div_zero 0
	.end_amdhsa_kernel
	.section	.text._Z11fill_kernelI13hipblaslt_bf8Z21hipblaslt_init_deviceIS0_Ev8ABC_dims24hipblaslt_initializationbPT_mmmmmEUlmE0_EvS5_mmT0_,"axG",@progbits,_Z11fill_kernelI13hipblaslt_bf8Z21hipblaslt_init_deviceIS0_Ev8ABC_dims24hipblaslt_initializationbPT_mmmmmEUlmE0_EvS5_mmT0_,comdat
.Lfunc_end78:
	.size	_Z11fill_kernelI13hipblaslt_bf8Z21hipblaslt_init_deviceIS0_Ev8ABC_dims24hipblaslt_initializationbPT_mmmmmEUlmE0_EvS5_mmT0_, .Lfunc_end78-_Z11fill_kernelI13hipblaslt_bf8Z21hipblaslt_init_deviceIS0_Ev8ABC_dims24hipblaslt_initializationbPT_mmmmmEUlmE0_EvS5_mmT0_
                                        ; -- End function
	.set _Z11fill_kernelI13hipblaslt_bf8Z21hipblaslt_init_deviceIS0_Ev8ABC_dims24hipblaslt_initializationbPT_mmmmmEUlmE0_EvS5_mmT0_.num_vgpr, 14
	.set _Z11fill_kernelI13hipblaslt_bf8Z21hipblaslt_init_deviceIS0_Ev8ABC_dims24hipblaslt_initializationbPT_mmmmmEUlmE0_EvS5_mmT0_.num_agpr, 0
	.set _Z11fill_kernelI13hipblaslt_bf8Z21hipblaslt_init_deviceIS0_Ev8ABC_dims24hipblaslt_initializationbPT_mmmmmEUlmE0_EvS5_mmT0_.numbered_sgpr, 10
	.set _Z11fill_kernelI13hipblaslt_bf8Z21hipblaslt_init_deviceIS0_Ev8ABC_dims24hipblaslt_initializationbPT_mmmmmEUlmE0_EvS5_mmT0_.num_named_barrier, 0
	.set _Z11fill_kernelI13hipblaslt_bf8Z21hipblaslt_init_deviceIS0_Ev8ABC_dims24hipblaslt_initializationbPT_mmmmmEUlmE0_EvS5_mmT0_.private_seg_size, 0
	.set _Z11fill_kernelI13hipblaslt_bf8Z21hipblaslt_init_deviceIS0_Ev8ABC_dims24hipblaslt_initializationbPT_mmmmmEUlmE0_EvS5_mmT0_.uses_vcc, 1
	.set _Z11fill_kernelI13hipblaslt_bf8Z21hipblaslt_init_deviceIS0_Ev8ABC_dims24hipblaslt_initializationbPT_mmmmmEUlmE0_EvS5_mmT0_.uses_flat_scratch, 0
	.set _Z11fill_kernelI13hipblaslt_bf8Z21hipblaslt_init_deviceIS0_Ev8ABC_dims24hipblaslt_initializationbPT_mmmmmEUlmE0_EvS5_mmT0_.has_dyn_sized_stack, 0
	.set _Z11fill_kernelI13hipblaslt_bf8Z21hipblaslt_init_deviceIS0_Ev8ABC_dims24hipblaslt_initializationbPT_mmmmmEUlmE0_EvS5_mmT0_.has_recursion, 0
	.set _Z11fill_kernelI13hipblaslt_bf8Z21hipblaslt_init_deviceIS0_Ev8ABC_dims24hipblaslt_initializationbPT_mmmmmEUlmE0_EvS5_mmT0_.has_indirect_call, 0
	.section	.AMDGPU.csdata,"",@progbits
; Kernel info:
; codeLenInByte = 872
; TotalNumSgprs: 12
; NumVgprs: 14
; ScratchSize: 0
; MemoryBound: 0
; FloatMode: 240
; IeeeMode: 1
; LDSByteSize: 0 bytes/workgroup (compile time only)
; SGPRBlocks: 0
; VGPRBlocks: 0
; NumSGPRsForWavesPerEU: 12
; NumVGPRsForWavesPerEU: 14
; NamedBarCnt: 0
; Occupancy: 16
; WaveLimiterHint : 0
; COMPUTE_PGM_RSRC2:SCRATCH_EN: 0
; COMPUTE_PGM_RSRC2:USER_SGPR: 2
; COMPUTE_PGM_RSRC2:TRAP_HANDLER: 0
; COMPUTE_PGM_RSRC2:TGID_X_EN: 1
; COMPUTE_PGM_RSRC2:TGID_Y_EN: 0
; COMPUTE_PGM_RSRC2:TGID_Z_EN: 0
; COMPUTE_PGM_RSRC2:TIDIG_COMP_CNT: 0
	.section	.text._Z11fill_kernelI13hipblaslt_bf8Z21hipblaslt_init_deviceIS0_Ev8ABC_dims24hipblaslt_initializationbPT_mmmmmEUlmE1_EvS5_mmT0_,"axG",@progbits,_Z11fill_kernelI13hipblaslt_bf8Z21hipblaslt_init_deviceIS0_Ev8ABC_dims24hipblaslt_initializationbPT_mmmmmEUlmE1_EvS5_mmT0_,comdat
	.protected	_Z11fill_kernelI13hipblaslt_bf8Z21hipblaslt_init_deviceIS0_Ev8ABC_dims24hipblaslt_initializationbPT_mmmmmEUlmE1_EvS5_mmT0_ ; -- Begin function _Z11fill_kernelI13hipblaslt_bf8Z21hipblaslt_init_deviceIS0_Ev8ABC_dims24hipblaslt_initializationbPT_mmmmmEUlmE1_EvS5_mmT0_
	.globl	_Z11fill_kernelI13hipblaslt_bf8Z21hipblaslt_init_deviceIS0_Ev8ABC_dims24hipblaslt_initializationbPT_mmmmmEUlmE1_EvS5_mmT0_
	.p2align	8
	.type	_Z11fill_kernelI13hipblaslt_bf8Z21hipblaslt_init_deviceIS0_Ev8ABC_dims24hipblaslt_initializationbPT_mmmmmEUlmE1_EvS5_mmT0_,@function
_Z11fill_kernelI13hipblaslt_bf8Z21hipblaslt_init_deviceIS0_Ev8ABC_dims24hipblaslt_initializationbPT_mmmmmEUlmE1_EvS5_mmT0_: ; @_Z11fill_kernelI13hipblaslt_bf8Z21hipblaslt_init_deviceIS0_Ev8ABC_dims24hipblaslt_initializationbPT_mmmmmEUlmE1_EvS5_mmT0_
; %bb.0:
	s_load_b32 s2, s[0:1], 0x34
	s_bfe_u32 s12, ttmp6, 0x4000c
	s_load_b256 s[4:11], s[0:1], 0x0
	s_add_co_i32 s12, s12, 1
	s_and_b32 s3, ttmp6, 15
	s_mul_i32 s12, ttmp9, s12
	s_getreg_b32 s13, hwreg(HW_REG_IB_STS2, 6, 4)
	s_add_co_i32 s3, s3, s12
	v_mov_b32_e32 v3, 0
	s_wait_kmcnt 0x0
	s_and_b32 s2, s2, 0xffff
	s_cmp_eq_u32 s13, 0
	s_cselect_b32 s3, ttmp9, s3
	s_delay_alu instid0(SALU_CYCLE_1) | instskip(SKIP_1) | instid1(VALU_DEP_1)
	v_mad_u32 v2, s3, s2, v0
	s_mov_b32 s2, exec_lo
	v_cmpx_gt_u64_e64 s[6:7], v[2:3]
	s_cbranch_execz .LBB79_20
; %bb.1:
	v_add_nc_u64_e32 v[0:1], s[8:9], v[2:3]
	s_mov_b32 s2, 0x19660d
                                        ; implicit-def: $vgpr8
	s_delay_alu instid0(VALU_DEP_1) | instid1(SALU_CYCLE_1)
	v_mad_nc_u64_u32 v[4:5], v0, s2, 0x3c6ef35f
	s_load_b64 s[2:3], s[0:1], 0x20
	s_wait_xcnt 0x0
	s_mov_b32 s0, exec_lo
	s_delay_alu instid0(VALU_DEP_1) | instskip(NEXT) | instid1(VALU_DEP_1)
	v_mad_u32 v5, 0x19660d, v1, v5
	v_lshlrev_b64_e32 v[6:7], 13, v[4:5]
	s_delay_alu instid0(VALU_DEP_1) | instskip(NEXT) | instid1(VALU_DEP_2)
	v_xor_b32_e32 v5, v7, v5
	v_xor_b32_e32 v4, v6, v4
	s_delay_alu instid0(VALU_DEP_1) | instskip(NEXT) | instid1(VALU_DEP_1)
	v_lshrrev_b64 v[6:7], 17, v[4:5]
	v_xor_b32_e32 v5, v7, v5
	s_delay_alu instid0(VALU_DEP_2) | instskip(NEXT) | instid1(VALU_DEP_1)
	v_xor_b32_e32 v4, v6, v4
	v_lshlrev_b64_e32 v[6:7], 5, v[4:5]
	s_delay_alu instid0(VALU_DEP_1) | instskip(NEXT) | instid1(VALU_DEP_2)
	v_xor_b32_e32 v5, v7, v5
	v_xor_b32_e32 v4, v6, v4
	s_delay_alu instid0(VALU_DEP_1) | instskip(NEXT) | instid1(VALU_DEP_1)
	v_lshlrev_b64_e32 v[6:7], 13, v[4:5]
	v_xor_b32_e32 v5, v7, v5
	s_delay_alu instid0(VALU_DEP_2) | instskip(NEXT) | instid1(VALU_DEP_1)
	v_xor_b32_e32 v4, v6, v4
	v_lshrrev_b64 v[6:7], 17, v[4:5]
	s_delay_alu instid0(VALU_DEP_1) | instskip(NEXT) | instid1(VALU_DEP_2)
	v_xor_b32_e32 v5, v7, v5
	v_xor_b32_e32 v4, v6, v4
	s_delay_alu instid0(VALU_DEP_1) | instskip(NEXT) | instid1(VALU_DEP_1)
	v_lshlrev_b64_e32 v[6:7], 5, v[4:5]
	v_xor_b32_e32 v5, v7, v5
	s_delay_alu instid0(VALU_DEP_2) | instskip(NEXT) | instid1(VALU_DEP_1)
	v_xor_b32_e32 v4, v6, v4
	v_lshlrev_b64_e32 v[6:7], 13, v[4:5]
	s_delay_alu instid0(VALU_DEP_1) | instskip(NEXT) | instid1(VALU_DEP_2)
	v_xor_b32_e32 v2, v7, v5
	v_dual_mov_b32 v7, v3 :: v_dual_bitop2_b32 v4, v6, v4 bitop3:0x14
	s_delay_alu instid0(VALU_DEP_1) | instskip(NEXT) | instid1(VALU_DEP_1)
	v_alignbit_b32 v2, v2, v4, 17
	v_xor_b32_e32 v2, v2, v4
	s_delay_alu instid0(VALU_DEP_1) | instskip(NEXT) | instid1(VALU_DEP_1)
	v_lshlrev_b32_e32 v4, 5, v2
	v_xor_b32_e32 v2, v4, v2
	s_delay_alu instid0(VALU_DEP_1) | instskip(NEXT) | instid1(VALU_DEP_1)
	v_mul_hi_u32 v4, 0xcccccccd, v2
	v_lshrrev_b32_e32 v4, 3, v4
	s_delay_alu instid0(VALU_DEP_1) | instskip(NEXT) | instid1(VALU_DEP_1)
	v_mul_lo_u32 v4, v4, 10
	v_sub_nc_u32_e32 v2, v2, v4
	s_delay_alu instid0(VALU_DEP_1) | instskip(NEXT) | instid1(VALU_DEP_1)
	v_add_nc_u32_e32 v2, 1, v2
	v_cvt_f32_u32_e32 v4, v2
	s_delay_alu instid0(VALU_DEP_1) | instskip(SKIP_1) | instid1(VALU_DEP_2)
	v_and_b32_e32 v6, 0x7f800000, v4
	v_and_b32_e32 v2, 0x7fffff, v4
	v_cmpx_ne_u64_e32 0x7f800000, v[6:7]
	s_xor_b32 s6, exec_lo, s0
	s_cbranch_execz .LBB79_9
; %bb.2:
	v_mov_b32_e32 v8, 0x7b
	s_mov_b32 s7, exec_lo
	v_cmpx_gt_u32_e32 0x47600001, v4
	s_cbranch_execz .LBB79_8
; %bb.3:
	v_or_b32_e32 v6, 0x800000, v2
	v_cmp_gt_u32_e32 vcc_lo, 0x800000, v4
	s_delay_alu instid0(VALU_DEP_2) | instskip(NEXT) | instid1(VALU_DEP_1)
	v_dual_lshrrev_b32 v12, 23, v4 :: v_dual_cndmask_b32 v2, v6, v2, vcc_lo
	v_sub_nc_u32_e64 v5, 0x71, v12 clamp
	s_delay_alu instid0(VALU_DEP_1) | instskip(NEXT) | instid1(VALU_DEP_1)
	v_cndmask_b32_e64 v13, v5, 0x70, vcc_lo
	v_dual_mov_b32 v5, 0 :: v_dual_add_nc_u32 v4, 21, v13
	v_add_nc_u32_e32 v10, 20, v13
	v_lshrrev_b64 v[8:9], v13, v[2:3]
	s_delay_alu instid0(VALU_DEP_3) | instskip(NEXT) | instid1(VALU_DEP_3)
	v_lshlrev_b64_e64 v[6:7], v4, -1
	v_lshlrev_b64_e64 v[10:11], v10, 1
	s_delay_alu instid0(VALU_DEP_3) | instskip(NEXT) | instid1(VALU_DEP_3)
	v_and_b32_e32 v4, 0x200000, v8
	v_bfi_b32 v3, v7, 0, 0
	s_delay_alu instid0(VALU_DEP_4) | instskip(SKIP_1) | instid1(VALU_DEP_4)
	v_bfi_b32 v2, v6, 0, v2
	v_add_nc_u32_e32 v6, 0xffffff90, v12
	v_cmp_eq_u64_e64 s0, 0, v[4:5]
	s_delay_alu instid0(VALU_DEP_3) | instskip(NEXT) | instid1(VALU_DEP_3)
	v_cmp_eq_u64_e64 s1, v[2:3], v[10:11]
	v_cndmask_b32_e64 v2, v6, 0xffffff91, vcc_lo
	v_lshrrev_b32_e32 v3, 23, v8
	s_delay_alu instid0(VALU_DEP_1) | instskip(SKIP_3) | instid1(VALU_DEP_2)
	v_add3_u32 v3, v2, v13, v3
	s_and_b32 vcc_lo, s0, s1
	s_mov_b32 s0, exec_lo
	v_subrev_co_ci_u32_e64 v4, null, 0, v8, vcc_lo
	v_add_nc_u32_e32 v6, -1, v3
	s_delay_alu instid0(VALU_DEP_2) | instskip(NEXT) | instid1(VALU_DEP_1)
	v_and_b32_e32 v2, 0x1fffff, v4
	v_add_nc_u32_e32 v4, v2, v8
                                        ; implicit-def: $vgpr2
	s_delay_alu instid0(VALU_DEP_3)
	v_cmpx_ne_u32_e32 0, v6
	s_xor_b32 s0, exec_lo, s0
	s_cbranch_execz .LBB79_5
; %bb.4:
	s_delay_alu instid0(VALU_DEP_2) | instskip(SKIP_2) | instid1(VALU_DEP_2)
	v_and_b32_e32 v8, 0x1000000, v4
	v_mov_b32_e32 v9, v5
	v_bfe_u32 v2, v4, 24, 1
	v_cmp_eq_u64_e32 vcc_lo, 0, v[8:9]
	s_delay_alu instid0(VALU_DEP_2)
	v_lshrrev_b64 v[4:5], v2, v[4:5]
	v_cndmask_b32_e32 v2, v3, v6, vcc_lo
.LBB79_5:
	s_and_not1_saveexec_b32 s0, s0
; %bb.6:
	s_delay_alu instid0(VALU_DEP_2)
	v_bfe_u32 v2, v4, 23, 1
; %bb.7:
	s_or_b32 exec_lo, exec_lo, s0
	s_delay_alu instid0(VALU_DEP_3) | instskip(NEXT) | instid1(VALU_DEP_2)
	v_lshrrev_b64 v[4:5], 21, v[4:5]
	v_cmp_gt_i32_e32 vcc_lo, 32, v2
	v_min_i32_e32 v3, 31, v2
	v_cmp_eq_u32_e64 s0, 0, v2
	s_delay_alu instid0(VALU_DEP_4) | instskip(NEXT) | instid1(VALU_DEP_3)
	v_dual_cndmask_b32 v5, 0, v5 :: v_dual_cndmask_b32 v4, 3, v4
	v_lshlrev_b32_e32 v3, 2, v3
	s_delay_alu instid0(VALU_DEP_2) | instskip(NEXT) | instid1(VALU_DEP_2)
	v_cmp_eq_u64_e32 vcc_lo, 0, v[4:5]
	v_and_or_b32 v2, v4, 3, v3
	s_and_b32 s0, s0, vcc_lo
	s_delay_alu instid0(VALU_DEP_1) | instid1(SALU_CYCLE_1)
	v_cndmask_b32_e64 v8, v2, 0, s0
.LBB79_8:
	s_or_b32 exec_lo, exec_lo, s7
                                        ; implicit-def: $vgpr2_vgpr3
.LBB79_9:
	s_and_not1_saveexec_b32 s0, s6
; %bb.10:
	v_cmp_eq_u64_e32 vcc_lo, 0, v[2:3]
	v_mov_b32_e32 v4, 0x7c
	s_delay_alu instid0(VALU_DEP_1)
	v_cndmask_b32_e32 v8, 0x7f, v4, vcc_lo
; %bb.11:
	s_or_b32 exec_lo, exec_lo, s0
	v_dual_mov_b32 v4, 0 :: v_dual_bitop2_b32 v5, s11, v1 bitop3:0x54
                                        ; implicit-def: $vgpr2_vgpr3
	s_mov_b32 s0, exec_lo
	s_delay_alu instid0(VALU_DEP_1)
	v_cmpx_ne_u64_e32 0, v[4:5]
	s_xor_b32 s1, exec_lo, s0
	s_cbranch_execz .LBB79_13
; %bb.12:
	s_cvt_f32_u32 s0, s10
	s_cvt_f32_u32 s6, s11
	s_sub_nc_u64 s[8:9], 0, s[10:11]
	s_mov_b32 s15, 0
	v_dual_mov_b32 v2, v0 :: v_dual_mov_b32 v3, v4
	s_fmamk_f32 s0, s6, 0x4f800000, s0
	v_dual_mov_b32 v6, v1 :: v_dual_mov_b32 v7, v4
	v_dual_mov_b32 v13, v4 :: v_dual_mov_b32 v5, v4
	s_delay_alu instid0(SALU_CYCLE_1) | instskip(NEXT) | instid1(TRANS32_DEP_1)
	v_s_rcp_f32 s0, s0
	s_mul_f32 s0, s0, 0x5f7ffffc
	s_delay_alu instid0(SALU_CYCLE_3) | instskip(NEXT) | instid1(SALU_CYCLE_3)
	s_mul_f32 s6, s0, 0x2f800000
	s_trunc_f32 s6, s6
	s_delay_alu instid0(SALU_CYCLE_3) | instskip(SKIP_1) | instid1(SALU_CYCLE_2)
	s_fmamk_f32 s0, s6, 0xcf800000, s0
	s_cvt_u32_f32 s7, s6
	s_cvt_u32_f32 s6, s0
	s_delay_alu instid0(SALU_CYCLE_3) | instskip(NEXT) | instid1(SALU_CYCLE_1)
	s_mul_u64 s[12:13], s[8:9], s[6:7]
	s_mul_hi_u32 s17, s6, s13
	s_mul_i32 s16, s6, s13
	s_mul_hi_u32 s14, s6, s12
	s_mul_i32 s18, s7, s12
	s_add_nc_u64 s[16:17], s[14:15], s[16:17]
	s_mul_hi_u32 s0, s7, s12
	s_mul_hi_u32 s19, s7, s13
	s_mul_i32 s12, s7, s13
	s_add_co_u32 s13, s16, s18
	s_add_co_ci_u32 s14, s17, s0
	s_add_co_ci_u32 s13, s19, 0
	s_delay_alu instid0(SALU_CYCLE_1) | instskip(NEXT) | instid1(SALU_CYCLE_1)
	s_add_nc_u64 s[12:13], s[14:15], s[12:13]
	s_add_co_u32 s6, s6, s12
	s_cselect_b32 s0, -1, 0
	s_delay_alu instid0(SALU_CYCLE_1) | instskip(SKIP_1) | instid1(SALU_CYCLE_1)
	s_cmp_lg_u32 s0, 0
	s_add_co_ci_u32 s7, s7, s13
	s_mul_u64 s[8:9], s[8:9], s[6:7]
	s_delay_alu instid0(SALU_CYCLE_1)
	s_mul_hi_u32 s13, s6, s9
	s_mul_i32 s12, s6, s9
	s_mul_hi_u32 s14, s6, s8
	s_mul_i32 s16, s7, s8
	s_add_nc_u64 s[12:13], s[14:15], s[12:13]
	s_mul_hi_u32 s0, s7, s8
	s_mul_hi_u32 s17, s7, s9
	s_mul_i32 s8, s7, s9
	s_add_co_u32 s9, s12, s16
	s_add_co_ci_u32 s14, s13, s0
	s_add_co_ci_u32 s9, s17, 0
	s_delay_alu instid0(SALU_CYCLE_1) | instskip(NEXT) | instid1(SALU_CYCLE_1)
	s_add_nc_u64 s[8:9], s[14:15], s[8:9]
	s_add_co_u32 s0, s6, s8
	s_cselect_b32 s6, -1, 0
	v_nop
	v_mul_hi_u32 v12, v0, s0
	s_cmp_lg_u32 s6, 0
	s_add_co_ci_u32 s14, s7, s9
	s_mov_b64 s[6:7], 0xffffffff
	v_mul_u64_e32 v[2:3], s[14:15], v[2:3]
	s_and_b64 s[6:7], s[0:1], s[6:7]
	s_delay_alu instid0(SALU_CYCLE_1) | instskip(SKIP_1) | instid1(VALU_DEP_3)
	v_mul_u64_e32 v[10:11], s[6:7], v[6:7]
	v_mul_u64_e32 v[6:7], s[14:15], v[6:7]
	v_add_nc_u64_e32 v[2:3], v[12:13], v[2:3]
	s_delay_alu instid0(VALU_DEP_1) | instskip(NEXT) | instid1(VALU_DEP_2)
	v_add_co_u32 v2, vcc_lo, v2, v10
	v_add_co_ci_u32_e32 v4, vcc_lo, v3, v11, vcc_lo
	s_delay_alu instid0(VALU_DEP_4) | instskip(NEXT) | instid1(VALU_DEP_1)
	v_add_co_ci_u32_e32 v7, vcc_lo, 0, v7, vcc_lo
	v_add_nc_u64_e32 v[2:3], v[4:5], v[6:7]
	s_delay_alu instid0(VALU_DEP_1) | instskip(NEXT) | instid1(VALU_DEP_1)
	v_mul_u64_e32 v[2:3], s[10:11], v[2:3]
	v_sub_nc_u32_e32 v4, v1, v3
	s_delay_alu instid0(VALU_DEP_2) | instskip(NEXT) | instid1(VALU_DEP_1)
	v_sub_co_u32 v2, vcc_lo, v0, v2
	v_sub_co_ci_u32_e64 v3, null, v1, v3, vcc_lo
	s_delay_alu instid0(VALU_DEP_3) | instskip(NEXT) | instid1(VALU_DEP_3)
	v_subrev_co_ci_u32_e64 v4, null, s11, v4, vcc_lo
	v_sub_co_u32 v5, vcc_lo, v2, s10
	v_cmp_le_u32_e64 s0, s10, v2
	s_delay_alu instid0(VALU_DEP_3) | instskip(SKIP_1) | instid1(VALU_DEP_3)
	v_subrev_co_ci_u32_e64 v6, null, 0, v4, vcc_lo
	v_subrev_co_ci_u32_e64 v4, null, s11, v4, vcc_lo
	v_cndmask_b32_e64 v7, 0, -1, s0
	v_cmp_le_u32_e64 s0, s10, v5
	v_cmp_le_u32_e32 vcc_lo, s11, v3
	s_delay_alu instid0(VALU_DEP_2) | instskip(SKIP_3) | instid1(VALU_DEP_3)
	v_cndmask_b32_e64 v9, 0, -1, s0
	v_cmp_le_u32_e64 s0, s11, v6
	v_cndmask_b32_e64 v11, 0, -1, vcc_lo
	v_cmp_eq_u32_e32 vcc_lo, s11, v6
	v_cndmask_b32_e64 v10, 0, -1, s0
	v_cmp_eq_u32_e64 s0, s11, v3
	s_delay_alu instid0(VALU_DEP_2) | instskip(SKIP_1) | instid1(VALU_DEP_1)
	v_cndmask_b32_e32 v9, v10, v9, vcc_lo
	v_sub_co_u32 v10, vcc_lo, v5, s10
	v_subrev_co_ci_u32_e64 v4, null, 0, v4, vcc_lo
	s_delay_alu instid0(VALU_DEP_3) | instskip(NEXT) | instid1(VALU_DEP_2)
	v_cmp_ne_u32_e32 vcc_lo, 0, v9
	v_dual_cndmask_b32 v7, v11, v7, s0 :: v_dual_cndmask_b32 v4, v6, v4, vcc_lo
	s_delay_alu instid0(VALU_DEP_4) | instskip(NEXT) | instid1(VALU_DEP_2)
	v_cndmask_b32_e32 v5, v5, v10, vcc_lo
	v_cmp_ne_u32_e32 vcc_lo, 0, v7
	s_delay_alu instid0(VALU_DEP_2)
	v_dual_cndmask_b32 v3, v3, v4 :: v_dual_cndmask_b32 v2, v2, v5
.LBB79_13:
	s_and_not1_saveexec_b32 s0, s1
	s_cbranch_execz .LBB79_15
; %bb.14:
	v_cvt_f32_u32_e32 v2, s10
	s_sub_co_i32 s1, 0, s10
	s_delay_alu instid0(VALU_DEP_1) | instskip(SKIP_1) | instid1(TRANS32_DEP_1)
	v_rcp_iflag_f32_e32 v2, v2
	v_nop
	v_mul_f32_e32 v2, 0x4f7ffffe, v2
	s_delay_alu instid0(VALU_DEP_1) | instskip(NEXT) | instid1(VALU_DEP_1)
	v_cvt_u32_f32_e32 v2, v2
	v_mul_lo_u32 v3, s1, v2
	s_delay_alu instid0(VALU_DEP_1) | instskip(NEXT) | instid1(VALU_DEP_1)
	v_mul_hi_u32 v3, v2, v3
	v_add_nc_u32_e32 v2, v2, v3
	s_delay_alu instid0(VALU_DEP_1) | instskip(NEXT) | instid1(VALU_DEP_1)
	v_mul_hi_u32 v2, v0, v2
	v_mul_lo_u32 v2, v2, s10
	s_delay_alu instid0(VALU_DEP_1) | instskip(NEXT) | instid1(VALU_DEP_1)
	v_sub_nc_u32_e32 v2, v0, v2
	v_subrev_nc_u32_e32 v3, s10, v2
	v_cmp_le_u32_e32 vcc_lo, s10, v2
	s_delay_alu instid0(VALU_DEP_2) | instskip(NEXT) | instid1(VALU_DEP_1)
	v_cndmask_b32_e32 v2, v2, v3, vcc_lo
	v_subrev_nc_u32_e32 v3, s10, v2
	v_cmp_le_u32_e32 vcc_lo, s10, v2
	s_delay_alu instid0(VALU_DEP_2)
	v_dual_cndmask_b32 v2, v2, v3 :: v_dual_mov_b32 v3, 0
.LBB79_15:
	s_or_b32 exec_lo, exec_lo, s0
	s_wait_kmcnt 0x0
	s_delay_alu instid0(VALU_DEP_1) | instskip(SKIP_1) | instid1(VALU_DEP_1)
	v_dual_mov_b32 v4, 0 :: v_dual_bitop2_b32 v5, s3, v3 bitop3:0x54
                                        ; implicit-def: $vgpr6_vgpr7
	s_mov_b32 s0, exec_lo
	v_cmpx_ne_u64_e32 0, v[4:5]
	s_xor_b32 s1, exec_lo, s0
	s_cbranch_execz .LBB79_17
; %bb.16:
	s_cvt_f32_u32 s0, s2
	s_cvt_f32_u32 s6, s3
	s_sub_nc_u64 s[8:9], 0, s[2:3]
	s_mov_b32 s13, 0
	v_dual_mov_b32 v6, v2 :: v_dual_mov_b32 v7, v4
	s_fmamk_f32 s0, s6, 0x4f800000, s0
	v_dual_mov_b32 v10, v3 :: v_dual_mov_b32 v11, v4
	v_dual_mov_b32 v15, v4 :: v_dual_mov_b32 v5, v4
	s_delay_alu instid0(SALU_CYCLE_1) | instskip(NEXT) | instid1(TRANS32_DEP_1)
	v_s_rcp_f32 s0, s0
	s_mul_f32 s0, s0, 0x5f7ffffc
	s_delay_alu instid0(SALU_CYCLE_3) | instskip(NEXT) | instid1(SALU_CYCLE_3)
	s_mul_f32 s6, s0, 0x2f800000
	s_trunc_f32 s6, s6
	s_delay_alu instid0(SALU_CYCLE_3) | instskip(SKIP_1) | instid1(SALU_CYCLE_2)
	s_fmamk_f32 s0, s6, 0xcf800000, s0
	s_cvt_u32_f32 s7, s6
	s_cvt_u32_f32 s6, s0
	s_delay_alu instid0(SALU_CYCLE_3) | instskip(NEXT) | instid1(SALU_CYCLE_1)
	s_mul_u64 s[10:11], s[8:9], s[6:7]
	s_mul_hi_u32 s15, s6, s11
	s_mul_i32 s14, s6, s11
	s_mul_hi_u32 s12, s6, s10
	s_mul_i32 s16, s7, s10
	s_add_nc_u64 s[14:15], s[12:13], s[14:15]
	s_mul_hi_u32 s0, s7, s10
	s_mul_hi_u32 s17, s7, s11
	s_mul_i32 s10, s7, s11
	s_add_co_u32 s11, s14, s16
	s_add_co_ci_u32 s12, s15, s0
	s_add_co_ci_u32 s11, s17, 0
	s_delay_alu instid0(SALU_CYCLE_1) | instskip(NEXT) | instid1(SALU_CYCLE_1)
	s_add_nc_u64 s[10:11], s[12:13], s[10:11]
	s_add_co_u32 s6, s6, s10
	s_cselect_b32 s0, -1, 0
	s_delay_alu instid0(SALU_CYCLE_1) | instskip(SKIP_1) | instid1(SALU_CYCLE_1)
	s_cmp_lg_u32 s0, 0
	s_add_co_ci_u32 s7, s7, s11
	s_mul_u64 s[8:9], s[8:9], s[6:7]
	s_delay_alu instid0(SALU_CYCLE_1)
	s_mul_hi_u32 s11, s6, s9
	s_mul_i32 s10, s6, s9
	s_mul_hi_u32 s12, s6, s8
	s_mul_i32 s14, s7, s8
	s_add_nc_u64 s[10:11], s[12:13], s[10:11]
	s_mul_hi_u32 s0, s7, s8
	s_mul_hi_u32 s15, s7, s9
	s_mul_i32 s8, s7, s9
	s_add_co_u32 s9, s10, s14
	s_add_co_ci_u32 s12, s11, s0
	s_add_co_ci_u32 s9, s15, 0
	s_delay_alu instid0(SALU_CYCLE_1) | instskip(NEXT) | instid1(SALU_CYCLE_1)
	s_add_nc_u64 s[8:9], s[12:13], s[8:9]
	s_add_co_u32 s0, s6, s8
	s_cselect_b32 s6, -1, 0
	v_nop
	v_mul_hi_u32 v14, v2, s0
	s_cmp_lg_u32 s6, 0
	s_add_co_ci_u32 s12, s7, s9
	s_mov_b64 s[6:7], 0xffffffff
	v_mul_u64_e32 v[6:7], s[12:13], v[6:7]
	s_and_b64 s[6:7], s[0:1], s[6:7]
	s_delay_alu instid0(SALU_CYCLE_1) | instskip(SKIP_1) | instid1(VALU_DEP_3)
	v_mul_u64_e32 v[12:13], s[6:7], v[10:11]
	v_mul_u64_e32 v[10:11], s[12:13], v[10:11]
	v_add_nc_u64_e32 v[6:7], v[14:15], v[6:7]
	s_delay_alu instid0(VALU_DEP_1) | instskip(NEXT) | instid1(VALU_DEP_2)
	v_add_co_u32 v4, vcc_lo, v6, v12
	v_add_co_ci_u32_e32 v4, vcc_lo, v7, v13, vcc_lo
	s_delay_alu instid0(VALU_DEP_4) | instskip(NEXT) | instid1(VALU_DEP_1)
	v_add_co_ci_u32_e32 v11, vcc_lo, 0, v11, vcc_lo
	v_add_nc_u64_e32 v[4:5], v[4:5], v[10:11]
	s_delay_alu instid0(VALU_DEP_1) | instskip(SKIP_2) | instid1(VALU_DEP_3)
	v_mul_u64_e32 v[6:7], s[2:3], v[4:5]
	v_add_nc_u64_e32 v[10:11], 2, v[4:5]
	v_add_nc_u64_e32 v[12:13], 1, v[4:5]
	v_sub_nc_u32_e32 v9, v3, v7
	s_delay_alu instid0(VALU_DEP_4) | instskip(NEXT) | instid1(VALU_DEP_1)
	v_sub_co_u32 v6, vcc_lo, v2, v6
	v_sub_co_ci_u32_e64 v3, null, v3, v7, vcc_lo
	s_delay_alu instid0(VALU_DEP_3) | instskip(NEXT) | instid1(VALU_DEP_3)
	v_subrev_co_ci_u32_e64 v9, null, s3, v9, vcc_lo
	v_sub_co_u32 v5, s0, v6, s2
	s_delay_alu instid0(VALU_DEP_1) | instskip(NEXT) | instid1(VALU_DEP_2)
	v_subrev_co_ci_u32_e64 v9, null, 0, v9, s0
	v_cmp_le_u32_e32 vcc_lo, s2, v5
	v_cndmask_b32_e64 v5, 0, -1, vcc_lo
	s_delay_alu instid0(VALU_DEP_3)
	v_cmp_le_u32_e32 vcc_lo, s3, v9
	v_cndmask_b32_e64 v7, 0, -1, vcc_lo
	v_cmp_le_u32_e32 vcc_lo, s2, v6
	v_cndmask_b32_e64 v6, 0, -1, vcc_lo
	;; [unrolled: 2-line block ×3, first 2 shown]
	v_cmp_eq_u32_e32 vcc_lo, s3, v9
	v_cndmask_b32_e32 v5, v7, v5, vcc_lo
	v_cmp_eq_u32_e32 vcc_lo, s3, v3
	s_delay_alu instid0(VALU_DEP_4) | instskip(NEXT) | instid1(VALU_DEP_3)
	v_cndmask_b32_e32 v3, v11, v6, vcc_lo
	v_cmp_ne_u32_e32 vcc_lo, 0, v5
	v_cndmask_b32_e32 v5, v12, v10, vcc_lo
	s_delay_alu instid0(VALU_DEP_3) | instskip(NEXT) | instid1(VALU_DEP_2)
	v_cmp_ne_u32_e32 vcc_lo, 0, v3
	v_cndmask_b32_e32 v6, v4, v5, vcc_lo
.LBB79_17:
	s_and_not1_saveexec_b32 s0, s1
	s_cbranch_execz .LBB79_19
; %bb.18:
	v_cvt_f32_u32_e32 v3, s2
	s_sub_co_i32 s1, 0, s2
	s_delay_alu instid0(VALU_DEP_1) | instskip(SKIP_1) | instid1(TRANS32_DEP_1)
	v_rcp_iflag_f32_e32 v3, v3
	v_nop
	v_mul_f32_e32 v3, 0x4f7ffffe, v3
	s_delay_alu instid0(VALU_DEP_1) | instskip(NEXT) | instid1(VALU_DEP_1)
	v_cvt_u32_f32_e32 v3, v3
	v_mul_lo_u32 v4, s1, v3
	s_delay_alu instid0(VALU_DEP_1) | instskip(NEXT) | instid1(VALU_DEP_1)
	v_mul_hi_u32 v4, v3, v4
	v_add_nc_u32_e32 v3, v3, v4
	s_delay_alu instid0(VALU_DEP_1) | instskip(NEXT) | instid1(VALU_DEP_1)
	v_mul_hi_u32 v3, v2, v3
	v_mul_lo_u32 v4, v3, s2
	s_delay_alu instid0(VALU_DEP_1) | instskip(NEXT) | instid1(VALU_DEP_1)
	v_dual_add_nc_u32 v5, 1, v3 :: v_dual_sub_nc_u32 v4, v2, v4
	v_subrev_nc_u32_e32 v6, s2, v4
	v_cmp_le_u32_e32 vcc_lo, s2, v4
	s_delay_alu instid0(VALU_DEP_2) | instskip(NEXT) | instid1(VALU_DEP_1)
	v_dual_cndmask_b32 v4, v4, v6 :: v_dual_cndmask_b32 v3, v3, v5
	v_cmp_le_u32_e32 vcc_lo, s2, v4
	s_delay_alu instid0(VALU_DEP_2) | instskip(NEXT) | instid1(VALU_DEP_1)
	v_add_nc_u32_e32 v5, 1, v3
	v_cndmask_b32_e32 v6, v3, v5, vcc_lo
.LBB79_19:
	s_or_b32 exec_lo, exec_lo, s0
	s_delay_alu instid0(VALU_DEP_1) | instskip(SKIP_1) | instid1(VALU_DEP_2)
	v_mul_lo_u32 v3, v6, s2
	v_add_nc_u64_e32 v[0:1], s[4:5], v[0:1]
	v_sub_nc_u32_e32 v2, v2, v3
	v_xor_b32_e32 v3, 0x80, v8
	s_delay_alu instid0(VALU_DEP_2) | instskip(NEXT) | instid1(VALU_DEP_1)
	v_bitop3_b32 v2, v2, 1, v6 bitop3:0x48
	v_cmp_eq_u32_e32 vcc_lo, 0, v2
	s_delay_alu instid0(VALU_DEP_3)
	v_cndmask_b32_e32 v2, v8, v3, vcc_lo
	global_store_b8 v[0:1], v2, off
.LBB79_20:
	s_endpgm
	.section	.rodata,"a",@progbits
	.p2align	6, 0x0
	.amdhsa_kernel _Z11fill_kernelI13hipblaslt_bf8Z21hipblaslt_init_deviceIS0_Ev8ABC_dims24hipblaslt_initializationbPT_mmmmmEUlmE1_EvS5_mmT0_
		.amdhsa_group_segment_fixed_size 0
		.amdhsa_private_segment_fixed_size 0
		.amdhsa_kernarg_size 296
		.amdhsa_user_sgpr_count 2
		.amdhsa_user_sgpr_dispatch_ptr 0
		.amdhsa_user_sgpr_queue_ptr 0
		.amdhsa_user_sgpr_kernarg_segment_ptr 1
		.amdhsa_user_sgpr_dispatch_id 0
		.amdhsa_user_sgpr_kernarg_preload_length 0
		.amdhsa_user_sgpr_kernarg_preload_offset 0
		.amdhsa_user_sgpr_private_segment_size 0
		.amdhsa_wavefront_size32 1
		.amdhsa_uses_dynamic_stack 0
		.amdhsa_enable_private_segment 0
		.amdhsa_system_sgpr_workgroup_id_x 1
		.amdhsa_system_sgpr_workgroup_id_y 0
		.amdhsa_system_sgpr_workgroup_id_z 0
		.amdhsa_system_sgpr_workgroup_info 0
		.amdhsa_system_vgpr_workitem_id 0
		.amdhsa_next_free_vgpr 16
		.amdhsa_next_free_sgpr 20
		.amdhsa_named_barrier_count 0
		.amdhsa_reserve_vcc 1
		.amdhsa_float_round_mode_32 0
		.amdhsa_float_round_mode_16_64 0
		.amdhsa_float_denorm_mode_32 3
		.amdhsa_float_denorm_mode_16_64 3
		.amdhsa_fp16_overflow 0
		.amdhsa_memory_ordered 1
		.amdhsa_forward_progress 1
		.amdhsa_inst_pref_size 19
		.amdhsa_round_robin_scheduling 0
		.amdhsa_exception_fp_ieee_invalid_op 0
		.amdhsa_exception_fp_denorm_src 0
		.amdhsa_exception_fp_ieee_div_zero 0
		.amdhsa_exception_fp_ieee_overflow 0
		.amdhsa_exception_fp_ieee_underflow 0
		.amdhsa_exception_fp_ieee_inexact 0
		.amdhsa_exception_int_div_zero 0
	.end_amdhsa_kernel
	.section	.text._Z11fill_kernelI13hipblaslt_bf8Z21hipblaslt_init_deviceIS0_Ev8ABC_dims24hipblaslt_initializationbPT_mmmmmEUlmE1_EvS5_mmT0_,"axG",@progbits,_Z11fill_kernelI13hipblaslt_bf8Z21hipblaslt_init_deviceIS0_Ev8ABC_dims24hipblaslt_initializationbPT_mmmmmEUlmE1_EvS5_mmT0_,comdat
.Lfunc_end79:
	.size	_Z11fill_kernelI13hipblaslt_bf8Z21hipblaslt_init_deviceIS0_Ev8ABC_dims24hipblaslt_initializationbPT_mmmmmEUlmE1_EvS5_mmT0_, .Lfunc_end79-_Z11fill_kernelI13hipblaslt_bf8Z21hipblaslt_init_deviceIS0_Ev8ABC_dims24hipblaslt_initializationbPT_mmmmmEUlmE1_EvS5_mmT0_
                                        ; -- End function
	.set _Z11fill_kernelI13hipblaslt_bf8Z21hipblaslt_init_deviceIS0_Ev8ABC_dims24hipblaslt_initializationbPT_mmmmmEUlmE1_EvS5_mmT0_.num_vgpr, 16
	.set _Z11fill_kernelI13hipblaslt_bf8Z21hipblaslt_init_deviceIS0_Ev8ABC_dims24hipblaslt_initializationbPT_mmmmmEUlmE1_EvS5_mmT0_.num_agpr, 0
	.set _Z11fill_kernelI13hipblaslt_bf8Z21hipblaslt_init_deviceIS0_Ev8ABC_dims24hipblaslt_initializationbPT_mmmmmEUlmE1_EvS5_mmT0_.numbered_sgpr, 20
	.set _Z11fill_kernelI13hipblaslt_bf8Z21hipblaslt_init_deviceIS0_Ev8ABC_dims24hipblaslt_initializationbPT_mmmmmEUlmE1_EvS5_mmT0_.num_named_barrier, 0
	.set _Z11fill_kernelI13hipblaslt_bf8Z21hipblaslt_init_deviceIS0_Ev8ABC_dims24hipblaslt_initializationbPT_mmmmmEUlmE1_EvS5_mmT0_.private_seg_size, 0
	.set _Z11fill_kernelI13hipblaslt_bf8Z21hipblaslt_init_deviceIS0_Ev8ABC_dims24hipblaslt_initializationbPT_mmmmmEUlmE1_EvS5_mmT0_.uses_vcc, 1
	.set _Z11fill_kernelI13hipblaslt_bf8Z21hipblaslt_init_deviceIS0_Ev8ABC_dims24hipblaslt_initializationbPT_mmmmmEUlmE1_EvS5_mmT0_.uses_flat_scratch, 0
	.set _Z11fill_kernelI13hipblaslt_bf8Z21hipblaslt_init_deviceIS0_Ev8ABC_dims24hipblaslt_initializationbPT_mmmmmEUlmE1_EvS5_mmT0_.has_dyn_sized_stack, 0
	.set _Z11fill_kernelI13hipblaslt_bf8Z21hipblaslt_init_deviceIS0_Ev8ABC_dims24hipblaslt_initializationbPT_mmmmmEUlmE1_EvS5_mmT0_.has_recursion, 0
	.set _Z11fill_kernelI13hipblaslt_bf8Z21hipblaslt_init_deviceIS0_Ev8ABC_dims24hipblaslt_initializationbPT_mmmmmEUlmE1_EvS5_mmT0_.has_indirect_call, 0
	.section	.AMDGPU.csdata,"",@progbits
; Kernel info:
; codeLenInByte = 2316
; TotalNumSgprs: 22
; NumVgprs: 16
; ScratchSize: 0
; MemoryBound: 0
; FloatMode: 240
; IeeeMode: 1
; LDSByteSize: 0 bytes/workgroup (compile time only)
; SGPRBlocks: 0
; VGPRBlocks: 0
; NumSGPRsForWavesPerEU: 22
; NumVGPRsForWavesPerEU: 16
; NamedBarCnt: 0
; Occupancy: 16
; WaveLimiterHint : 0
; COMPUTE_PGM_RSRC2:SCRATCH_EN: 0
; COMPUTE_PGM_RSRC2:USER_SGPR: 2
; COMPUTE_PGM_RSRC2:TRAP_HANDLER: 0
; COMPUTE_PGM_RSRC2:TGID_X_EN: 1
; COMPUTE_PGM_RSRC2:TGID_Y_EN: 0
; COMPUTE_PGM_RSRC2:TGID_Z_EN: 0
; COMPUTE_PGM_RSRC2:TIDIG_COMP_CNT: 0
	.section	.text._Z11fill_kernelI13hipblaslt_bf8Z21hipblaslt_init_deviceIS0_Ev8ABC_dims24hipblaslt_initializationbPT_mmmmmEUlmE2_EvS5_mmT0_,"axG",@progbits,_Z11fill_kernelI13hipblaslt_bf8Z21hipblaslt_init_deviceIS0_Ev8ABC_dims24hipblaslt_initializationbPT_mmmmmEUlmE2_EvS5_mmT0_,comdat
	.protected	_Z11fill_kernelI13hipblaslt_bf8Z21hipblaslt_init_deviceIS0_Ev8ABC_dims24hipblaslt_initializationbPT_mmmmmEUlmE2_EvS5_mmT0_ ; -- Begin function _Z11fill_kernelI13hipblaslt_bf8Z21hipblaslt_init_deviceIS0_Ev8ABC_dims24hipblaslt_initializationbPT_mmmmmEUlmE2_EvS5_mmT0_
	.globl	_Z11fill_kernelI13hipblaslt_bf8Z21hipblaslt_init_deviceIS0_Ev8ABC_dims24hipblaslt_initializationbPT_mmmmmEUlmE2_EvS5_mmT0_
	.p2align	8
	.type	_Z11fill_kernelI13hipblaslt_bf8Z21hipblaslt_init_deviceIS0_Ev8ABC_dims24hipblaslt_initializationbPT_mmmmmEUlmE2_EvS5_mmT0_,@function
_Z11fill_kernelI13hipblaslt_bf8Z21hipblaslt_init_deviceIS0_Ev8ABC_dims24hipblaslt_initializationbPT_mmmmmEUlmE2_EvS5_mmT0_: ; @_Z11fill_kernelI13hipblaslt_bf8Z21hipblaslt_init_deviceIS0_Ev8ABC_dims24hipblaslt_initializationbPT_mmmmmEUlmE2_EvS5_mmT0_
; %bb.0:
	s_clause 0x1
	s_load_b32 s2, s[0:1], 0x44
	s_load_b128 s[12:15], s[0:1], 0x0
	s_bfe_u32 s3, ttmp6, 0x4000c
	s_and_b32 s4, ttmp6, 15
	s_add_co_i32 s3, s3, 1
	s_getreg_b32 s5, hwreg(HW_REG_IB_STS2, 6, 4)
	s_mul_i32 s3, ttmp9, s3
	v_mov_b32_e32 v3, 0
	s_add_co_i32 s4, s4, s3
	s_wait_kmcnt 0x0
	s_and_b32 s2, s2, 0xffff
	s_cmp_eq_u32 s5, 0
	s_cselect_b32 s3, ttmp9, s4
	s_delay_alu instid0(SALU_CYCLE_1) | instskip(SKIP_1) | instid1(VALU_DEP_1)
	v_mad_u32 v2, s3, s2, v0
	s_mov_b32 s2, exec_lo
	v_cmpx_gt_u64_e64 s[14:15], v[2:3]
	s_cbranch_execz .LBB80_36
; %bb.1:
	s_clause 0x1
	s_load_b64 s[2:3], s[0:1], 0x10
	s_load_b256 s[4:11], s[0:1], 0x18
	s_wait_xcnt 0x0
	s_mov_b32 s0, exec_lo
	v_mov_b32_e32 v4, v3
	s_wait_kmcnt 0x0
	v_add_nc_u64_e32 v[0:1], s[2:3], v[2:3]
                                        ; implicit-def: $vgpr2_vgpr3
	s_delay_alu instid0(VALU_DEP_1) | instskip(NEXT) | instid1(VALU_DEP_1)
	v_or_b32_e32 v5, s9, v1
	v_cmpx_ne_u64_e32 0, v[4:5]
	s_xor_b32 s1, exec_lo, s0
	s_cbranch_execz .LBB80_3
; %bb.2:
	s_cvt_f32_u32 s0, s8
	s_cvt_f32_u32 s2, s9
	s_sub_nc_u64 s[14:15], 0, s[8:9]
	s_mov_b32 s19, 0
	v_dual_mov_b32 v3, 0 :: v_dual_mov_b32 v2, v0
	s_fmamk_f32 s0, s2, 0x4f800000, s0
	s_delay_alu instid0(SALU_CYCLE_3) | instskip(NEXT) | instid1(TRANS32_DEP_1)
	v_s_rcp_f32 s0, s0
	s_mul_f32 s0, s0, 0x5f7ffffc
	s_delay_alu instid0(SALU_CYCLE_3) | instskip(NEXT) | instid1(SALU_CYCLE_3)
	s_mul_f32 s2, s0, 0x2f800000
	s_trunc_f32 s2, s2
	s_delay_alu instid0(SALU_CYCLE_3) | instskip(SKIP_1) | instid1(SALU_CYCLE_2)
	s_fmamk_f32 s0, s2, 0xcf800000, s0
	s_cvt_u32_f32 s3, s2
	s_cvt_u32_f32 s2, s0
	s_delay_alu instid0(SALU_CYCLE_3) | instskip(NEXT) | instid1(SALU_CYCLE_1)
	s_mul_u64 s[16:17], s[14:15], s[2:3]
	s_mul_hi_u32 s21, s2, s17
	s_mul_i32 s20, s2, s17
	s_mul_hi_u32 s18, s2, s16
	s_mul_i32 s22, s3, s16
	s_add_nc_u64 s[20:21], s[18:19], s[20:21]
	s_mul_hi_u32 s0, s3, s16
	s_mul_hi_u32 s23, s3, s17
	s_mul_i32 s16, s3, s17
	s_add_co_u32 s17, s20, s22
	s_add_co_ci_u32 s18, s21, s0
	s_add_co_ci_u32 s17, s23, 0
	s_delay_alu instid0(SALU_CYCLE_1) | instskip(NEXT) | instid1(SALU_CYCLE_1)
	s_add_nc_u64 s[16:17], s[18:19], s[16:17]
	s_add_co_u32 s2, s2, s16
	s_cselect_b32 s0, -1, 0
	s_delay_alu instid0(SALU_CYCLE_1) | instskip(SKIP_1) | instid1(SALU_CYCLE_1)
	s_cmp_lg_u32 s0, 0
	s_add_co_ci_u32 s3, s3, s17
	s_mul_u64 s[14:15], s[14:15], s[2:3]
	s_delay_alu instid0(SALU_CYCLE_1)
	s_mul_hi_u32 s17, s2, s15
	s_mul_i32 s16, s2, s15
	s_mul_hi_u32 s18, s2, s14
	s_mul_i32 s20, s3, s14
	s_add_nc_u64 s[16:17], s[18:19], s[16:17]
	s_mul_hi_u32 s0, s3, s14
	s_mul_hi_u32 s21, s3, s15
	s_mul_i32 s14, s3, s15
	s_add_co_u32 s15, s16, s20
	s_add_co_ci_u32 s18, s17, s0
	s_add_co_ci_u32 s15, s21, 0
	s_delay_alu instid0(SALU_CYCLE_1) | instskip(NEXT) | instid1(SALU_CYCLE_1)
	s_add_nc_u64 s[14:15], s[18:19], s[14:15]
	s_add_co_u32 s0, s2, s14
	s_cselect_b32 s2, -1, 0
	s_delay_alu instid0(SALU_CYCLE_1)
	s_cmp_lg_u32 s2, 0
	s_add_co_ci_u32 s18, s3, s15
	s_mov_b64 s[2:3], 0xffffffff
	v_mul_u64_e32 v[4:5], s[18:19], v[2:3]
	v_mul_hi_u32 v2, v0, s0
	s_and_b64 s[2:3], s[0:1], s[2:3]
	s_delay_alu instid0(VALU_DEP_1) | instskip(SKIP_1) | instid1(VALU_DEP_1)
	v_add_nc_u64_e32 v[4:5], v[2:3], v[4:5]
	v_mov_b32_e32 v2, v1
	v_mul_u64_e32 v[6:7], s[2:3], v[2:3]
	v_mul_u64_e32 v[8:9], s[18:19], v[2:3]
	s_delay_alu instid0(VALU_DEP_2) | instskip(NEXT) | instid1(VALU_DEP_3)
	v_add_co_u32 v2, vcc_lo, v4, v6
	v_add_co_ci_u32_e32 v2, vcc_lo, v5, v7, vcc_lo
	s_delay_alu instid0(VALU_DEP_3) | instskip(NEXT) | instid1(VALU_DEP_1)
	v_add_co_ci_u32_e32 v9, vcc_lo, 0, v9, vcc_lo
	v_add_nc_u64_e32 v[2:3], v[2:3], v[8:9]
	s_delay_alu instid0(VALU_DEP_1) | instskip(NEXT) | instid1(VALU_DEP_1)
	v_mul_u64_e32 v[4:5], s[8:9], v[2:3]
	v_sub_nc_u32_e32 v6, v1, v5
	s_delay_alu instid0(VALU_DEP_2) | instskip(NEXT) | instid1(VALU_DEP_1)
	v_sub_co_u32 v4, vcc_lo, v0, v4
	v_sub_co_ci_u32_e64 v11, null, v1, v5, vcc_lo
	s_delay_alu instid0(VALU_DEP_3) | instskip(NEXT) | instid1(VALU_DEP_3)
	v_subrev_co_ci_u32_e64 v6, null, s9, v6, vcc_lo
	v_sub_co_u32 v8, s0, v4, s8
	v_cmp_le_u32_e32 vcc_lo, s8, v4
	s_delay_alu instid0(VALU_DEP_3) | instskip(NEXT) | instid1(VALU_DEP_3)
	v_subrev_co_ci_u32_e64 v9, null, 0, v6, s0
	v_cmp_le_u32_e64 s0, s8, v8
	v_add_nc_u64_e32 v[6:7], 2, v[2:3]
	v_cndmask_b32_e64 v12, 0, -1, vcc_lo
	s_delay_alu instid0(VALU_DEP_4) | instskip(SKIP_3) | instid1(VALU_DEP_1)
	v_cmp_eq_u32_e32 vcc_lo, s9, v9
	v_add_nc_u64_e32 v[4:5], 1, v[2:3]
	v_cndmask_b32_e64 v8, 0, -1, s0
	v_cmp_le_u32_e64 s0, s9, v9
	v_cndmask_b32_e64 v10, 0, -1, s0
	v_cmp_eq_u32_e64 s0, s9, v11
	s_delay_alu instid0(VALU_DEP_2) | instskip(SKIP_2) | instid1(VALU_DEP_3)
	v_cndmask_b32_e32 v8, v10, v8, vcc_lo
	v_cmp_le_u32_e32 vcc_lo, s9, v11
	v_cndmask_b32_e64 v9, 0, -1, vcc_lo
	v_cmp_ne_u32_e32 vcc_lo, 0, v8
	s_delay_alu instid0(VALU_DEP_2) | instskip(SKIP_1) | instid1(VALU_DEP_2)
	v_dual_cndmask_b32 v8, v9, v12, s0 :: v_dual_cndmask_b32 v4, v4, v6, vcc_lo
	v_cndmask_b32_e32 v5, v5, v7, vcc_lo
	v_cmp_ne_u32_e32 vcc_lo, 0, v8
	s_delay_alu instid0(VALU_DEP_2)
	v_dual_cndmask_b32 v3, v3, v5 :: v_dual_cndmask_b32 v2, v2, v4
.LBB80_3:
	s_and_not1_saveexec_b32 s0, s1
	s_cbranch_execz .LBB80_5
; %bb.4:
	v_cvt_f32_u32_e32 v2, s8
	s_sub_co_i32 s1, 0, s8
	s_delay_alu instid0(VALU_DEP_1) | instskip(SKIP_1) | instid1(TRANS32_DEP_1)
	v_rcp_iflag_f32_e32 v2, v2
	v_nop
	v_mul_f32_e32 v2, 0x4f7ffffe, v2
	s_delay_alu instid0(VALU_DEP_1) | instskip(NEXT) | instid1(VALU_DEP_1)
	v_cvt_u32_f32_e32 v2, v2
	v_mul_lo_u32 v3, s1, v2
	s_delay_alu instid0(VALU_DEP_1) | instskip(NEXT) | instid1(VALU_DEP_1)
	v_mul_hi_u32 v3, v2, v3
	v_add_nc_u32_e32 v2, v2, v3
	s_delay_alu instid0(VALU_DEP_1) | instskip(NEXT) | instid1(VALU_DEP_1)
	v_mul_hi_u32 v2, v0, v2
	v_mul_lo_u32 v3, v2, s8
	s_delay_alu instid0(VALU_DEP_1) | instskip(NEXT) | instid1(VALU_DEP_1)
	v_dual_add_nc_u32 v4, 1, v2 :: v_dual_sub_nc_u32 v3, v0, v3
	v_subrev_nc_u32_e32 v5, s8, v3
	v_cmp_le_u32_e32 vcc_lo, s8, v3
	s_delay_alu instid0(VALU_DEP_2) | instskip(NEXT) | instid1(VALU_DEP_1)
	v_dual_cndmask_b32 v3, v3, v5 :: v_dual_cndmask_b32 v2, v2, v4
	v_cmp_le_u32_e32 vcc_lo, s8, v3
	s_delay_alu instid0(VALU_DEP_2) | instskip(NEXT) | instid1(VALU_DEP_1)
	v_dual_mov_b32 v3, 0 :: v_dual_add_nc_u32 v4, 1, v2
	v_cndmask_b32_e32 v2, v2, v4, vcc_lo
.LBB80_5:
	s_or_b32 exec_lo, exec_lo, s0
	s_delay_alu instid0(VALU_DEP_1) | instskip(SKIP_2) | instid1(VALU_DEP_2)
	v_mul_u64_e32 v[4:5], s[8:9], v[2:3]
                                        ; implicit-def: $vgpr8_vgpr9
	s_mov_b32 s0, exec_lo
	v_mov_b32_e32 v6, 0
	v_sub_nc_u64_e32 v[4:5], v[0:1], v[4:5]
	s_delay_alu instid0(VALU_DEP_1) | instskip(NEXT) | instid1(VALU_DEP_1)
	v_or_b32_e32 v7, s11, v5
	v_cmpx_ne_u64_e32 0, v[6:7]
	s_xor_b32 s1, exec_lo, s0
	s_cbranch_execz .LBB80_7
; %bb.6:
	s_cvt_f32_u32 s0, s10
	s_cvt_f32_u32 s2, s11
	s_sub_nc_u64 s[8:9], 0, s[10:11]
	s_mov_b32 s17, 0
	v_dual_mov_b32 v8, v4 :: v_dual_mov_b32 v9, v6
	s_fmamk_f32 s0, s2, 0x4f800000, s0
	v_dual_mov_b32 v10, v5 :: v_dual_mov_b32 v11, v6
	v_dual_mov_b32 v15, v6 :: v_dual_mov_b32 v7, v6
	s_delay_alu instid0(SALU_CYCLE_1) | instskip(NEXT) | instid1(TRANS32_DEP_1)
	v_s_rcp_f32 s0, s0
	s_mul_f32 s0, s0, 0x5f7ffffc
	s_delay_alu instid0(SALU_CYCLE_3) | instskip(NEXT) | instid1(SALU_CYCLE_3)
	s_mul_f32 s2, s0, 0x2f800000
	s_trunc_f32 s2, s2
	s_delay_alu instid0(SALU_CYCLE_3) | instskip(SKIP_1) | instid1(SALU_CYCLE_2)
	s_fmamk_f32 s0, s2, 0xcf800000, s0
	s_cvt_u32_f32 s3, s2
	s_cvt_u32_f32 s2, s0
	s_delay_alu instid0(SALU_CYCLE_3) | instskip(NEXT) | instid1(SALU_CYCLE_1)
	s_mul_u64 s[14:15], s[8:9], s[2:3]
	s_mul_hi_u32 s19, s2, s15
	s_mul_i32 s18, s2, s15
	s_mul_hi_u32 s16, s2, s14
	s_mul_i32 s20, s3, s14
	s_add_nc_u64 s[18:19], s[16:17], s[18:19]
	s_mul_hi_u32 s0, s3, s14
	s_mul_hi_u32 s21, s3, s15
	s_mul_i32 s14, s3, s15
	s_add_co_u32 s15, s18, s20
	s_add_co_ci_u32 s16, s19, s0
	s_add_co_ci_u32 s15, s21, 0
	s_delay_alu instid0(SALU_CYCLE_1) | instskip(NEXT) | instid1(SALU_CYCLE_1)
	s_add_nc_u64 s[14:15], s[16:17], s[14:15]
	s_add_co_u32 s2, s2, s14
	s_cselect_b32 s0, -1, 0
	s_delay_alu instid0(SALU_CYCLE_1) | instskip(SKIP_1) | instid1(SALU_CYCLE_1)
	s_cmp_lg_u32 s0, 0
	s_add_co_ci_u32 s3, s3, s15
	s_mul_u64 s[8:9], s[8:9], s[2:3]
	s_delay_alu instid0(SALU_CYCLE_1)
	s_mul_hi_u32 s15, s2, s9
	s_mul_i32 s14, s2, s9
	s_mul_hi_u32 s16, s2, s8
	s_mul_i32 s18, s3, s8
	s_add_nc_u64 s[14:15], s[16:17], s[14:15]
	s_mul_hi_u32 s0, s3, s8
	s_mul_hi_u32 s19, s3, s9
	s_mul_i32 s8, s3, s9
	s_add_co_u32 s9, s14, s18
	s_add_co_ci_u32 s16, s15, s0
	s_add_co_ci_u32 s9, s19, 0
	s_delay_alu instid0(SALU_CYCLE_1) | instskip(NEXT) | instid1(SALU_CYCLE_1)
	s_add_nc_u64 s[8:9], s[16:17], s[8:9]
	s_add_co_u32 s0, s2, s8
	s_cselect_b32 s2, -1, 0
	v_nop
	v_mul_hi_u32 v14, v4, s0
	s_cmp_lg_u32 s2, 0
	s_add_co_ci_u32 s16, s3, s9
	s_mov_b64 s[2:3], 0xffffffff
	v_mul_u64_e32 v[8:9], s[16:17], v[8:9]
	s_and_b64 s[2:3], s[0:1], s[2:3]
	s_delay_alu instid0(SALU_CYCLE_1) | instskip(SKIP_1) | instid1(VALU_DEP_3)
	v_mul_u64_e32 v[12:13], s[2:3], v[10:11]
	v_mul_u64_e32 v[10:11], s[16:17], v[10:11]
	v_add_nc_u64_e32 v[8:9], v[14:15], v[8:9]
	s_delay_alu instid0(VALU_DEP_1) | instskip(NEXT) | instid1(VALU_DEP_2)
	v_add_co_u32 v6, vcc_lo, v8, v12
	v_add_co_ci_u32_e32 v6, vcc_lo, v9, v13, vcc_lo
	s_delay_alu instid0(VALU_DEP_4) | instskip(NEXT) | instid1(VALU_DEP_1)
	v_add_co_ci_u32_e32 v11, vcc_lo, 0, v11, vcc_lo
	v_add_nc_u64_e32 v[6:7], v[6:7], v[10:11]
	s_delay_alu instid0(VALU_DEP_1) | instskip(NEXT) | instid1(VALU_DEP_1)
	v_mul_u64_e32 v[8:9], s[10:11], v[6:7]
	v_sub_nc_u32_e32 v10, v5, v9
	s_delay_alu instid0(VALU_DEP_2) | instskip(NEXT) | instid1(VALU_DEP_1)
	v_sub_co_u32 v8, vcc_lo, v4, v8
	v_sub_co_ci_u32_e64 v15, null, v5, v9, vcc_lo
	s_delay_alu instid0(VALU_DEP_3) | instskip(NEXT) | instid1(VALU_DEP_3)
	v_subrev_co_ci_u32_e64 v10, null, s11, v10, vcc_lo
	v_sub_co_u32 v12, s0, v8, s10
	v_cmp_le_u32_e32 vcc_lo, s10, v8
	s_delay_alu instid0(VALU_DEP_3) | instskip(NEXT) | instid1(VALU_DEP_3)
	v_subrev_co_ci_u32_e64 v13, null, 0, v10, s0
	v_cmp_le_u32_e64 s0, s10, v12
	v_add_nc_u64_e32 v[10:11], 2, v[6:7]
	v_cndmask_b32_e64 v16, 0, -1, vcc_lo
	s_delay_alu instid0(VALU_DEP_4) | instskip(SKIP_3) | instid1(VALU_DEP_1)
	v_cmp_eq_u32_e32 vcc_lo, s11, v13
	v_add_nc_u64_e32 v[8:9], 1, v[6:7]
	v_cndmask_b32_e64 v12, 0, -1, s0
	v_cmp_le_u32_e64 s0, s11, v13
	v_cndmask_b32_e64 v14, 0, -1, s0
	v_cmp_eq_u32_e64 s0, s11, v15
	s_delay_alu instid0(VALU_DEP_2) | instskip(SKIP_2) | instid1(VALU_DEP_3)
	v_cndmask_b32_e32 v12, v14, v12, vcc_lo
	v_cmp_le_u32_e32 vcc_lo, s11, v15
	v_cndmask_b32_e64 v13, 0, -1, vcc_lo
	v_cmp_ne_u32_e32 vcc_lo, 0, v12
	s_delay_alu instid0(VALU_DEP_2) | instskip(SKIP_1) | instid1(VALU_DEP_2)
	v_dual_cndmask_b32 v12, v13, v16, s0 :: v_dual_cndmask_b32 v8, v8, v10, vcc_lo
	v_cndmask_b32_e32 v9, v9, v11, vcc_lo
	v_cmp_ne_u32_e32 vcc_lo, 0, v12
	s_delay_alu instid0(VALU_DEP_2)
	v_dual_cndmask_b32 v8, v6, v8 :: v_dual_cndmask_b32 v9, v7, v9
.LBB80_7:
	s_and_not1_saveexec_b32 s0, s1
	s_cbranch_execz .LBB80_9
; %bb.8:
	v_cvt_f32_u32_e32 v6, s10
	s_sub_co_i32 s1, 0, s10
	s_delay_alu instid0(VALU_DEP_1) | instskip(SKIP_1) | instid1(TRANS32_DEP_1)
	v_rcp_iflag_f32_e32 v6, v6
	v_nop
	v_mul_f32_e32 v6, 0x4f7ffffe, v6
	s_delay_alu instid0(VALU_DEP_1) | instskip(NEXT) | instid1(VALU_DEP_1)
	v_cvt_u32_f32_e32 v6, v6
	v_mul_lo_u32 v7, s1, v6
	s_delay_alu instid0(VALU_DEP_1) | instskip(NEXT) | instid1(VALU_DEP_1)
	v_mul_hi_u32 v7, v6, v7
	v_add_nc_u32_e32 v6, v6, v7
	s_delay_alu instid0(VALU_DEP_1) | instskip(NEXT) | instid1(VALU_DEP_1)
	v_mul_hi_u32 v6, v4, v6
	v_mul_lo_u32 v7, v6, s10
	s_delay_alu instid0(VALU_DEP_1) | instskip(NEXT) | instid1(VALU_DEP_1)
	v_dual_add_nc_u32 v8, 1, v6 :: v_dual_sub_nc_u32 v7, v4, v7
	v_subrev_nc_u32_e32 v9, s10, v7
	v_cmp_le_u32_e32 vcc_lo, s10, v7
	s_delay_alu instid0(VALU_DEP_2) | instskip(NEXT) | instid1(VALU_DEP_4)
	v_dual_cndmask_b32 v7, v7, v9, vcc_lo :: v_dual_mov_b32 v9, 0
	v_cndmask_b32_e32 v6, v6, v8, vcc_lo
	s_delay_alu instid0(VALU_DEP_2) | instskip(NEXT) | instid1(VALU_DEP_2)
	v_cmp_le_u32_e32 vcc_lo, s10, v7
	v_add_nc_u32_e32 v8, 1, v6
	s_delay_alu instid0(VALU_DEP_1)
	v_cndmask_b32_e32 v8, v6, v8, vcc_lo
.LBB80_9:
	s_or_b32 exec_lo, exec_lo, s0
	s_delay_alu instid0(VALU_DEP_1) | instskip(SKIP_1) | instid1(VALU_DEP_1)
	v_mul_u64_e32 v[6:7], s[10:11], v[8:9]
	v_mad_nc_u64_u32 v[8:9], v2, s6, v[8:9]
	v_mad_u32 v3, v3, s6, v9
	s_delay_alu instid0(VALU_DEP_1) | instskip(NEXT) | instid1(VALU_DEP_4)
	v_mad_u32 v2, v2, s7, v3
	v_sub_nc_u64_e32 v[4:5], v[4:5], v[6:7]
	s_delay_alu instid0(VALU_DEP_1) | instskip(NEXT) | instid1(VALU_DEP_1)
	v_mad_nc_u64_u32 v[4:5], v8, s4, v[4:5]
	v_mad_u32 v2, v2, s4, v5
	s_delay_alu instid0(VALU_DEP_2) | instskip(NEXT) | instid1(VALU_DEP_2)
	v_cvt_f64_u32_e32 v[6:7], v4
	v_mad_u32 v5, v8, s5, v2
                                        ; implicit-def: $vgpr8
	s_delay_alu instid0(VALU_DEP_1) | instskip(SKIP_1) | instid1(VALU_DEP_2)
	v_cvt_f64_u32_e32 v[2:3], v5
	v_cmp_lt_u64_e32 vcc_lo, 0x3fffffff, v[4:5]
                                        ; implicit-def: $vgpr4_vgpr5
	v_ldexp_f64 v[2:3], v[2:3], 32
	s_delay_alu instid0(VALU_DEP_1) | instskip(SKIP_1) | instid1(SALU_CYCLE_1)
	v_add_f64_e32 v[2:3], v[2:3], v[6:7]
                                        ; implicit-def: $vgpr6_vgpr7
	s_and_saveexec_b32 s0, vcc_lo
	s_xor_b32 s0, exec_lo, s0
	s_cbranch_execz .LBB80_11
; %bb.10:
	s_delay_alu instid0(VALU_DEP_1) | instskip(SKIP_3) | instid1(VALU_DEP_3)
	v_trig_preop_f64 v[4:5], v[2:3], 0
	v_trig_preop_f64 v[6:7], v[2:3], 1
	;; [unrolled: 1-line block ×3, first 2 shown]
	s_mov_b64 s[2:3], 0x3ff921fb54442d18
	v_dual_mul_f64 v[8:9], v[4:5], v[2:3] :: v_dual_mov_b32 v24, 0
	s_delay_alu instid0(VALU_DEP_3) | instskip(NEXT) | instid1(VALU_DEP_3)
	v_mul_f64_e32 v[10:11], v[6:7], v[2:3]
	v_mul_f64_e32 v[22:23], v[16:17], v[2:3]
	s_delay_alu instid0(VALU_DEP_3) | instskip(NEXT) | instid1(VALU_DEP_3)
	v_fma_f64 v[4:5], v[4:5], v[2:3], -v[8:9]
	v_fma_f64 v[6:7], v[6:7], v[2:3], -v[10:11]
	s_delay_alu instid0(VALU_DEP_3) | instskip(NEXT) | instid1(VALU_DEP_3)
	v_fma_f64 v[16:17], v[16:17], v[2:3], -v[22:23]
	v_add_f64_e32 v[12:13], v[10:11], v[4:5]
	s_delay_alu instid0(VALU_DEP_1) | instskip(SKIP_1) | instid1(VALU_DEP_2)
	v_add_f64_e64 v[14:15], v[12:13], -v[10:11]
	v_add_f64_e32 v[20:21], v[8:9], v[12:13]
	v_add_f64_e64 v[18:19], v[12:13], -v[14:15]
	v_add_f64_e64 v[4:5], v[4:5], -v[14:15]
	s_delay_alu instid0(VALU_DEP_3) | instskip(NEXT) | instid1(VALU_DEP_3)
	v_ldexp_f64 v[14:15], v[20:21], -2
	v_add_f64_e64 v[10:11], v[10:11], -v[18:19]
	v_add_f64_e32 v[18:19], v[22:23], v[6:7]
	s_delay_alu instid0(VALU_DEP_3) | instskip(NEXT) | instid1(VALU_DEP_3)
	v_cmp_neq_f64_e64 vcc_lo, 0x7ff00000, |v[14:15]|
	v_add_f64_e32 v[4:5], v[4:5], v[10:11]
	v_fract_f64_e32 v[10:11], v[14:15]
	s_delay_alu instid0(VALU_DEP_1) | instskip(NEXT) | instid1(VALU_DEP_1)
	v_ldexp_f64 v[10:11], v[10:11], 2
	v_dual_add_f64 v[8:9], v[20:21], -v[8:9] :: v_dual_cndmask_b32 v10, 0, v10, vcc_lo
	s_delay_alu instid0(VALU_DEP_1) | instskip(SKIP_1) | instid1(VALU_DEP_1)
	v_dual_add_f64 v[8:9], v[12:13], -v[8:9] :: v_dual_cndmask_b32 v11, 0, v11, vcc_lo
	v_add_f64_e32 v[12:13], v[18:19], v[4:5]
	v_add_f64_e32 v[14:15], v[8:9], v[12:13]
	v_add_f64_e64 v[26:27], v[12:13], -v[18:19]
	s_delay_alu instid0(VALU_DEP_2) | instskip(NEXT) | instid1(VALU_DEP_2)
	v_add_f64_e32 v[20:21], v[14:15], v[10:11]
	v_add_f64_e64 v[32:33], v[12:13], -v[26:27]
	v_add_f64_e64 v[4:5], v[4:5], -v[26:27]
	v_add_f64_e64 v[8:9], v[14:15], -v[8:9]
	s_delay_alu instid0(VALU_DEP_4) | instskip(SKIP_1) | instid1(VALU_DEP_3)
	v_cmp_gt_f64_e32 vcc_lo, 0, v[20:21]
	v_add_f64_e64 v[20:21], v[18:19], -v[22:23]
	v_add_f64_e64 v[8:9], v[12:13], -v[8:9]
	v_cndmask_b32_e64 v25, 0, 0x40100000, vcc_lo
	s_delay_alu instid0(VALU_DEP_3) | instskip(SKIP_2) | instid1(VALU_DEP_4)
	v_add_f64_e64 v[30:31], v[18:19], -v[20:21]
	v_add_f64_e64 v[6:7], v[6:7], -v[20:21]
	;; [unrolled: 1-line block ×3, first 2 shown]
	v_add_f64_e32 v[10:11], v[10:11], v[24:25]
	s_delay_alu instid0(VALU_DEP_4) | instskip(NEXT) | instid1(VALU_DEP_3)
	v_add_f64_e64 v[20:21], v[22:23], -v[30:31]
	v_add_f64_e32 v[4:5], v[4:5], v[18:19]
	s_delay_alu instid0(VALU_DEP_3) | instskip(NEXT) | instid1(VALU_DEP_3)
	v_add_f64_e32 v[28:29], v[14:15], v[10:11]
	v_add_f64_e32 v[6:7], v[6:7], v[20:21]
	s_delay_alu instid0(VALU_DEP_2) | instskip(NEXT) | instid1(VALU_DEP_2)
	v_cvt_i32_f64_e32 v25, v[28:29]
	v_add_f64_e32 v[4:5], v[6:7], v[4:5]
	s_delay_alu instid0(VALU_DEP_2) | instskip(NEXT) | instid1(VALU_DEP_2)
	v_cvt_f64_i32_e32 v[26:27], v25
	v_add_f64_e32 v[4:5], v[16:17], v[4:5]
	s_delay_alu instid0(VALU_DEP_2) | instskip(NEXT) | instid1(VALU_DEP_2)
	v_add_f64_e64 v[10:11], v[10:11], -v[26:27]
	v_add_f64_e32 v[4:5], v[8:9], v[4:5]
	s_delay_alu instid0(VALU_DEP_2) | instskip(NEXT) | instid1(VALU_DEP_1)
	v_add_f64_e32 v[6:7], v[14:15], v[10:11]
	v_add_f64_e64 v[10:11], v[6:7], -v[10:11]
	v_cmp_le_f64_e32 vcc_lo, 0.5, v[6:7]
	s_delay_alu instid0(VALU_DEP_2) | instskip(SKIP_2) | instid1(VALU_DEP_1)
	v_add_f64_e64 v[10:11], v[14:15], -v[10:11]
	v_add_co_ci_u32_e64 v8, null, 0, v25, vcc_lo
	v_cndmask_b32_e64 v25, 0, 0x3ff00000, vcc_lo
	v_add_f64_e64 v[6:7], v[6:7], -v[24:25]
	s_delay_alu instid0(VALU_DEP_4) | instskip(NEXT) | instid1(VALU_DEP_1)
	v_add_f64_e32 v[4:5], v[4:5], v[10:11]
	v_add_f64_e32 v[10:11], v[6:7], v[4:5]
	s_delay_alu instid0(VALU_DEP_1) | instskip(SKIP_1) | instid1(VALU_DEP_2)
	v_mul_f64_e32 v[12:13], 0x3ff921fb54442d18, v[10:11]
	v_add_f64_e64 v[6:7], v[10:11], -v[6:7]
	v_fma_f64 v[14:15], v[10:11], s[2:3], -v[12:13]
	s_delay_alu instid0(VALU_DEP_2) | instskip(NEXT) | instid1(VALU_DEP_2)
	v_add_f64_e64 v[4:5], v[4:5], -v[6:7]
	v_fmamk_f64 v[6:7], v[10:11], 0x3c91a62633145c07, v[14:15]
	s_delay_alu instid0(VALU_DEP_1) | instskip(NEXT) | instid1(VALU_DEP_1)
	v_fmac_f64_e32 v[6:7], 0x3ff921fb54442d18, v[4:5]
	v_add_f64_e32 v[4:5], v[12:13], v[6:7]
	s_delay_alu instid0(VALU_DEP_1) | instskip(NEXT) | instid1(VALU_DEP_1)
	v_add_f64_e64 v[10:11], v[4:5], -v[12:13]
	v_add_f64_e64 v[6:7], v[6:7], -v[10:11]
.LBB80_11:
	s_and_not1_saveexec_b32 s0, s0
	s_cbranch_execz .LBB80_13
; %bb.12:
	s_delay_alu instid0(VALU_DEP_1) | instskip(NEXT) | instid1(VALU_DEP_1)
	v_mul_f64_e32 v[4:5], 0x3fe45f306dc9c883, v[2:3]
	v_rndne_f64_e32 v[8:9], v[4:5]
	s_delay_alu instid0(VALU_DEP_1) | instskip(SKIP_1) | instid1(VALU_DEP_1)
	v_mul_f64_e32 v[4:5], 0xbc91a62633145c00, v[8:9]
	v_fmamk_f64 v[6:7], v[8:9], 0xbff921fb54442d18, v[2:3]
	v_add_f64_e32 v[10:11], v[6:7], v[4:5]
	s_delay_alu instid0(VALU_DEP_1) | instskip(SKIP_1) | instid1(VALU_DEP_1)
	v_add_f64_e64 v[12:13], v[6:7], -v[10:11]
	v_fmamk_f64 v[6:7], v[8:9], 0xbc91a62633145c00, v[6:7]
	v_add_f64_e64 v[10:11], v[10:11], -v[6:7]
	s_delay_alu instid0(VALU_DEP_3) | instskip(SKIP_1) | instid1(VALU_DEP_2)
	v_add_f64_e32 v[12:13], v[12:13], v[4:5]
	v_fmamk_f64 v[4:5], v[8:9], 0x3c91a62633145c00, v[4:5]
	v_add_f64_e32 v[10:11], v[10:11], v[12:13]
	s_delay_alu instid0(VALU_DEP_1) | instskip(NEXT) | instid1(VALU_DEP_1)
	v_add_f64_e64 v[4:5], v[10:11], -v[4:5]
	v_fmamk_f64 v[10:11], v[8:9], 0xb97b839a252049c0, v[4:5]
	v_cvt_i32_f64_e32 v8, v[8:9]
	s_delay_alu instid0(VALU_DEP_2) | instskip(NEXT) | instid1(VALU_DEP_1)
	v_add_f64_e32 v[4:5], v[6:7], v[10:11]
	v_add_f64_e64 v[6:7], v[4:5], -v[6:7]
	s_delay_alu instid0(VALU_DEP_1)
	v_add_f64_e64 v[6:7], v[10:11], -v[6:7]
.LBB80_13:
	s_or_b32 exec_lo, exec_lo, s0
	v_mul_f64_e32 v[10:11], v[4:5], v[4:5]
	s_delay_alu instid0(VALU_DEP_2) | instskip(SKIP_2) | instid1(VALU_DEP_1)
	v_mul_f64_e32 v[18:19], 0.5, v[6:7]
	s_mov_b64 s[0:1], 0x3de5e0b2f9a43bb8
	v_dual_lshlrev_b32 v8, 30, v8 :: v_dual_bitop2_b32 v2, 1, v8 bitop3:0x40
	v_cmp_eq_u32_e32 vcc_lo, 0, v2
	s_delay_alu instid0(VALU_DEP_2)
	v_bitop3_b32 v9, v8, 0x80000000, v3 bitop3:0x48
	v_xor_b32_e32 v3, v8, v3
	v_mul_f64_e32 v[12:13], 0.5, v[10:11]
	v_mul_f64_e64 v[20:21], v[4:5], -v[10:11]
	v_fmaak_f64 v[22:23], s[0:1], v[10:11], 0xbe5ae600b42fdfa7
	s_mov_b64 s[0:1], 0xbda907db46cc5e42
	s_delay_alu instid0(VALU_DEP_3) | instskip(NEXT) | instid1(VALU_DEP_1)
	v_add_f64_e64 v[14:15], -v[12:13], 1.0
	v_add_f64_e64 v[16:17], -v[14:15], 1.0
	s_delay_alu instid0(VALU_DEP_1) | instskip(NEXT) | instid1(VALU_DEP_4)
	v_add_f64_e64 v[12:13], v[16:17], -v[12:13]
	v_fmaak_f64 v[16:17], v[10:11], v[22:23], 0x3ec71de3796cde01
	v_mul_f64_e32 v[22:23], v[10:11], v[10:11]
	s_delay_alu instid0(VALU_DEP_2) | instskip(NEXT) | instid1(VALU_DEP_1)
	v_fmaak_f64 v[16:17], v[10:11], v[16:17], 0xbf2a01a019e83e5c
	v_fmaak_f64 v[16:17], v[10:11], v[16:17], 0x3f81111111110bb3
	s_delay_alu instid0(VALU_DEP_1) | instskip(SKIP_2) | instid1(VALU_DEP_1)
	v_fmac_f64_e32 v[18:19], v[20:21], v[16:17]
	v_fmaak_f64 v[16:17], s[0:1], v[10:11], 0x3e21eeb69037ab78
	s_mov_b64 s[0:1], 0x7ff0000000000000
	v_fmaak_f64 v[16:17], v[10:11], v[16:17], 0xbe927e4fa17f65f6
	v_fma_f64 v[12:13], v[4:5], -v[6:7], v[12:13]
	s_delay_alu instid0(VALU_DEP_2) | instskip(NEXT) | instid1(VALU_DEP_1)
	v_fmaak_f64 v[16:17], v[10:11], v[16:17], 0x3efa01a019f4ec90
	v_fmaak_f64 v[16:17], v[10:11], v[16:17], 0xbf56c16c16c16967
	v_fma_f64 v[6:7], v[10:11], v[18:19], -v[6:7]
	s_delay_alu instid0(VALU_DEP_2) | instskip(NEXT) | instid1(VALU_DEP_1)
	v_fmaak_f64 v[10:11], v[10:11], v[16:17], 0x3fa5555555555555
	v_fmac_f64_e32 v[12:13], v[22:23], v[10:11]
	s_delay_alu instid0(VALU_DEP_3) | instskip(NEXT) | instid1(VALU_DEP_1)
	v_fmamk_f64 v[6:7], v[20:21], 0xbfc5555555555555, v[6:7]
	v_add_f64_e64 v[4:5], v[4:5], -v[6:7]
	s_delay_alu instid0(VALU_DEP_3) | instskip(NEXT) | instid1(VALU_DEP_1)
	v_add_f64_e32 v[6:7], v[14:15], v[12:13]
	v_dual_cndmask_b32 v2, v6, v4, vcc_lo :: v_dual_cndmask_b32 v6, v7, v5, vcc_lo
	v_mov_b32_e32 v4, 0
	s_delay_alu instid0(VALU_DEP_2) | instskip(SKIP_1) | instid1(VALU_DEP_2)
	v_bitop3_b32 v5, v6, 0x7ff00000, v9 bitop3:0x48
	v_bitop3_b32 v3, v6, v3, 0x80000000 bitop3:0x78
	v_cmp_ne_u64_e32 vcc_lo, s[0:1], v[4:5]
	v_bitop3_b32 v5, v6, 0xfffff, v9 bitop3:0x48
	v_mov_b32_e32 v4, v2
                                        ; implicit-def: $vgpr6
	s_and_saveexec_b32 s0, vcc_lo
	s_delay_alu instid0(SALU_CYCLE_1)
	s_xor_b32 s2, exec_lo, s0
	s_cbranch_execz .LBB80_29
; %bb.14:
	v_and_b32_e32 v7, 0x7fffffff, v3
	v_dual_mov_b32 v6, v2 :: v_dual_lshrrev_b32 v8, 24, v3
	s_mov_b64 s[0:1], 0x40ec000000000001
	s_delay_alu instid0(VALU_DEP_1) | instid1(SALU_CYCLE_1)
	v_cmp_gt_u64_e32 vcc_lo, s[0:1], v[6:7]
	s_delay_alu instid0(VALU_DEP_2) | instskip(SKIP_1) | instid1(SALU_CYCLE_1)
	v_and_b32_e32 v8, 0x80, v8
                                        ; implicit-def: $vgpr6
	s_and_saveexec_b32 s0, vcc_lo
	s_xor_b32 s3, exec_lo, s0
	s_cbranch_execz .LBB80_26
; %bb.15:
	v_mov_b32_e32 v6, 0
	s_mov_b32 s4, exec_lo
	v_cmpx_ne_u64_e32 0, v[2:3]
	s_cbranch_execz .LBB80_25
; %bb.16:
	v_bfe_u32 v9, v3, 20, 11
	v_or_b32_e32 v3, 0x100000, v5
	s_mov_b32 s5, 0
	s_delay_alu instid0(VALU_DEP_2) | instskip(SKIP_1) | instid1(VALU_DEP_2)
	v_sub_nc_u32_e64 v2, 0x3f1, v9 clamp
	v_cmp_eq_u32_e32 vcc_lo, 0, v9
	v_cndmask_b32_e64 v14, v2, 0x3f0, vcc_lo
	s_delay_alu instid0(VALU_DEP_1) | instskip(SKIP_1) | instid1(VALU_DEP_2)
	v_dual_cndmask_b32 v5, v3, v5 :: v_dual_add_nc_u32 v6, 50, v14
	v_add_nc_u32_e32 v7, 49, v14
	v_lshrrev_b64 v[2:3], v14, v[4:5]
	s_delay_alu instid0(VALU_DEP_3) | instskip(SKIP_1) | instid1(VALU_DEP_4)
	v_lshlrev_b64_e64 v[10:11], v6, -1
	v_mov_b32_e32 v6, 0
	v_lshlrev_b64_e64 v[12:13], v7, 1
	s_delay_alu instid0(VALU_DEP_4) | instskip(NEXT) | instid1(VALU_DEP_4)
	v_and_b32_e32 v7, 0x40000, v3
	v_bfi_b32 v5, v11, 0, v5
	v_bfi_b32 v4, v10, 0, v4
	s_delay_alu instid0(VALU_DEP_3) | instskip(SKIP_2) | instid1(VALU_DEP_4)
	v_cmp_eq_u64_e64 s0, 0, v[6:7]
	v_add_nc_u32_e32 v7, 0xfffffc10, v9
	v_lshrrev_b32_e32 v9, 20, v3
	v_cmp_eq_u64_e64 s1, v[4:5], v[12:13]
	v_mov_b32_e32 v5, s5
	s_delay_alu instid0(VALU_DEP_4) | instskip(SKIP_1) | instid1(SALU_CYCLE_1)
	v_cndmask_b32_e64 v7, v7, 0xfffffc11, vcc_lo
	s_and_b32 s0, s0, s1
	v_cndmask_b32_e64 v4, 0, 1, s0
	s_mov_b32 s0, exec_lo
	s_delay_alu instid0(VALU_DEP_1) | instskip(SKIP_1) | instid1(VALU_DEP_1)
	v_sub_nc_u64_e32 v[10:11], v[2:3], v[4:5]
	v_add3_u32 v5, v7, v14, v9
                                        ; implicit-def: $vgpr4
	v_add_nc_u32_e32 v9, -1, v5
	s_delay_alu instid0(VALU_DEP_3) | instskip(NEXT) | instid1(VALU_DEP_1)
	v_and_b32_e32 v11, 0x3ffff, v11
	v_add_nc_u64_e32 v[2:3], v[10:11], v[2:3]
	s_delay_alu instid0(VALU_DEP_3)
	v_cmpx_ne_u32_e32 0, v9
	s_xor_b32 s0, exec_lo, s0
; %bb.17:
	s_delay_alu instid0(VALU_DEP_2) | instskip(SKIP_1) | instid1(VALU_DEP_2)
	v_and_b32_e32 v7, 0x200000, v3
	v_bfe_u32 v4, v3, 21, 1
	v_cmp_eq_u64_e32 vcc_lo, 0, v[6:7]
	s_delay_alu instid0(VALU_DEP_2)
	v_lshrrev_b64 v[2:3], v4, v[2:3]
	v_cndmask_b32_e32 v4, v5, v9, vcc_lo
; %bb.18:
	s_and_not1_saveexec_b32 s0, s0
; %bb.19:
	s_delay_alu instid0(VALU_DEP_2)
	v_bfe_u32 v4, v3, 20, 1
; %bb.20:
	s_or_b32 exec_lo, exec_lo, s0
	v_dual_mov_b32 v3, 0 :: v_dual_lshrrev_b32 v2, 18, v3
	s_delay_alu instid0(VALU_DEP_2) | instskip(SKIP_1) | instid1(VALU_DEP_3)
	v_cmp_gt_i32_e32 vcc_lo, 32, v4
	v_cmp_ne_u32_e64 s0, 0, v4
                                        ; implicit-def: $vgpr6
	v_cndmask_b32_e32 v2, 3, v2, vcc_lo
	s_delay_alu instid0(VALU_DEP_1) | instskip(SKIP_1) | instid1(SALU_CYCLE_1)
	v_cmp_ne_u64_e32 vcc_lo, 0, v[2:3]
	s_or_b32 s0, s0, vcc_lo
	s_and_saveexec_b32 s1, s0
	s_delay_alu instid0(SALU_CYCLE_1)
	s_xor_b32 s0, exec_lo, s1
; %bb.21:
	v_min_i32_e32 v3, 31, v4
	s_delay_alu instid0(VALU_DEP_1) | instskip(NEXT) | instid1(VALU_DEP_1)
	v_lshl_or_b32 v3, v3, 2, v8
                                        ; implicit-def: $vgpr8
	v_and_or_b32 v6, v2, 3, v3
; %bb.22:
	s_and_not1_saveexec_b32 s0, s0
; %bb.23:
	v_mov_b32_e32 v6, v8
; %bb.24:
	s_or_b32 exec_lo, exec_lo, s0
.LBB80_25:
	s_delay_alu instid0(SALU_CYCLE_1)
	s_or_b32 exec_lo, exec_lo, s4
                                        ; implicit-def: $vgpr8
.LBB80_26:
	s_and_not1_saveexec_b32 s0, s3
; %bb.27:
	v_or_b32_e32 v6, 0x7b, v8
; %bb.28:
	s_or_b32 exec_lo, exec_lo, s0
                                        ; implicit-def: $vgpr2_vgpr3
                                        ; implicit-def: $vgpr4_vgpr5
.LBB80_29:
	s_and_not1_saveexec_b32 s0, s2
	s_cbranch_execz .LBB80_35
; %bb.30:
	s_mov_b32 s1, exec_lo
                                        ; implicit-def: $vgpr6
	v_cmpx_ne_u64_e32 0, v[4:5]
	s_xor_b32 s1, exec_lo, s1
; %bb.31:
	v_lshrrev_b32_e32 v6, 24, v3
                                        ; implicit-def: $vgpr2_vgpr3
; %bb.32:
	s_and_not1_saveexec_b32 s1, s1
; %bb.33:
	v_cmp_lt_i64_e32 vcc_lo, -1, v[2:3]
	v_cndmask_b32_e64 v6, -4, 0x7c, vcc_lo
; %bb.34:
	s_or_b32 exec_lo, exec_lo, s1
.LBB80_35:
	s_delay_alu instid0(SALU_CYCLE_1)
	s_or_b32 exec_lo, exec_lo, s0
	v_add_nc_u64_e32 v[0:1], s[12:13], v[0:1]
	global_store_b8 v[0:1], v6, off
.LBB80_36:
	s_endpgm
	.section	.rodata,"a",@progbits
	.p2align	6, 0x0
	.amdhsa_kernel _Z11fill_kernelI13hipblaslt_bf8Z21hipblaslt_init_deviceIS0_Ev8ABC_dims24hipblaslt_initializationbPT_mmmmmEUlmE2_EvS5_mmT0_
		.amdhsa_group_segment_fixed_size 0
		.amdhsa_private_segment_fixed_size 0
		.amdhsa_kernarg_size 312
		.amdhsa_user_sgpr_count 2
		.amdhsa_user_sgpr_dispatch_ptr 0
		.amdhsa_user_sgpr_queue_ptr 0
		.amdhsa_user_sgpr_kernarg_segment_ptr 1
		.amdhsa_user_sgpr_dispatch_id 0
		.amdhsa_user_sgpr_kernarg_preload_length 0
		.amdhsa_user_sgpr_kernarg_preload_offset 0
		.amdhsa_user_sgpr_private_segment_size 0
		.amdhsa_wavefront_size32 1
		.amdhsa_uses_dynamic_stack 0
		.amdhsa_enable_private_segment 0
		.amdhsa_system_sgpr_workgroup_id_x 1
		.amdhsa_system_sgpr_workgroup_id_y 0
		.amdhsa_system_sgpr_workgroup_id_z 0
		.amdhsa_system_sgpr_workgroup_info 0
		.amdhsa_system_vgpr_workitem_id 0
		.amdhsa_next_free_vgpr 34
		.amdhsa_next_free_sgpr 24
		.amdhsa_named_barrier_count 0
		.amdhsa_reserve_vcc 1
		.amdhsa_float_round_mode_32 0
		.amdhsa_float_round_mode_16_64 0
		.amdhsa_float_denorm_mode_32 3
		.amdhsa_float_denorm_mode_16_64 3
		.amdhsa_fp16_overflow 0
		.amdhsa_memory_ordered 1
		.amdhsa_forward_progress 1
		.amdhsa_inst_pref_size 27
		.amdhsa_round_robin_scheduling 0
		.amdhsa_exception_fp_ieee_invalid_op 0
		.amdhsa_exception_fp_denorm_src 0
		.amdhsa_exception_fp_ieee_div_zero 0
		.amdhsa_exception_fp_ieee_overflow 0
		.amdhsa_exception_fp_ieee_underflow 0
		.amdhsa_exception_fp_ieee_inexact 0
		.amdhsa_exception_int_div_zero 0
	.end_amdhsa_kernel
	.section	.text._Z11fill_kernelI13hipblaslt_bf8Z21hipblaslt_init_deviceIS0_Ev8ABC_dims24hipblaslt_initializationbPT_mmmmmEUlmE2_EvS5_mmT0_,"axG",@progbits,_Z11fill_kernelI13hipblaslt_bf8Z21hipblaslt_init_deviceIS0_Ev8ABC_dims24hipblaslt_initializationbPT_mmmmmEUlmE2_EvS5_mmT0_,comdat
.Lfunc_end80:
	.size	_Z11fill_kernelI13hipblaslt_bf8Z21hipblaslt_init_deviceIS0_Ev8ABC_dims24hipblaslt_initializationbPT_mmmmmEUlmE2_EvS5_mmT0_, .Lfunc_end80-_Z11fill_kernelI13hipblaslt_bf8Z21hipblaslt_init_deviceIS0_Ev8ABC_dims24hipblaslt_initializationbPT_mmmmmEUlmE2_EvS5_mmT0_
                                        ; -- End function
	.set _Z11fill_kernelI13hipblaslt_bf8Z21hipblaslt_init_deviceIS0_Ev8ABC_dims24hipblaslt_initializationbPT_mmmmmEUlmE2_EvS5_mmT0_.num_vgpr, 34
	.set _Z11fill_kernelI13hipblaslt_bf8Z21hipblaslt_init_deviceIS0_Ev8ABC_dims24hipblaslt_initializationbPT_mmmmmEUlmE2_EvS5_mmT0_.num_agpr, 0
	.set _Z11fill_kernelI13hipblaslt_bf8Z21hipblaslt_init_deviceIS0_Ev8ABC_dims24hipblaslt_initializationbPT_mmmmmEUlmE2_EvS5_mmT0_.numbered_sgpr, 24
	.set _Z11fill_kernelI13hipblaslt_bf8Z21hipblaslt_init_deviceIS0_Ev8ABC_dims24hipblaslt_initializationbPT_mmmmmEUlmE2_EvS5_mmT0_.num_named_barrier, 0
	.set _Z11fill_kernelI13hipblaslt_bf8Z21hipblaslt_init_deviceIS0_Ev8ABC_dims24hipblaslt_initializationbPT_mmmmmEUlmE2_EvS5_mmT0_.private_seg_size, 0
	.set _Z11fill_kernelI13hipblaslt_bf8Z21hipblaslt_init_deviceIS0_Ev8ABC_dims24hipblaslt_initializationbPT_mmmmmEUlmE2_EvS5_mmT0_.uses_vcc, 1
	.set _Z11fill_kernelI13hipblaslt_bf8Z21hipblaslt_init_deviceIS0_Ev8ABC_dims24hipblaslt_initializationbPT_mmmmmEUlmE2_EvS5_mmT0_.uses_flat_scratch, 0
	.set _Z11fill_kernelI13hipblaslt_bf8Z21hipblaslt_init_deviceIS0_Ev8ABC_dims24hipblaslt_initializationbPT_mmmmmEUlmE2_EvS5_mmT0_.has_dyn_sized_stack, 0
	.set _Z11fill_kernelI13hipblaslt_bf8Z21hipblaslt_init_deviceIS0_Ev8ABC_dims24hipblaslt_initializationbPT_mmmmmEUlmE2_EvS5_mmT0_.has_recursion, 0
	.set _Z11fill_kernelI13hipblaslt_bf8Z21hipblaslt_init_deviceIS0_Ev8ABC_dims24hipblaslt_initializationbPT_mmmmmEUlmE2_EvS5_mmT0_.has_indirect_call, 0
	.section	.AMDGPU.csdata,"",@progbits
; Kernel info:
; codeLenInByte = 3376
; TotalNumSgprs: 26
; NumVgprs: 34
; ScratchSize: 0
; MemoryBound: 0
; FloatMode: 240
; IeeeMode: 1
; LDSByteSize: 0 bytes/workgroup (compile time only)
; SGPRBlocks: 0
; VGPRBlocks: 2
; NumSGPRsForWavesPerEU: 26
; NumVGPRsForWavesPerEU: 34
; NamedBarCnt: 0
; Occupancy: 16
; WaveLimiterHint : 0
; COMPUTE_PGM_RSRC2:SCRATCH_EN: 0
; COMPUTE_PGM_RSRC2:USER_SGPR: 2
; COMPUTE_PGM_RSRC2:TRAP_HANDLER: 0
; COMPUTE_PGM_RSRC2:TGID_X_EN: 1
; COMPUTE_PGM_RSRC2:TGID_Y_EN: 0
; COMPUTE_PGM_RSRC2:TGID_Z_EN: 0
; COMPUTE_PGM_RSRC2:TIDIG_COMP_CNT: 0
	.section	.text._Z11fill_kernelI13hipblaslt_bf8Z21hipblaslt_init_deviceIS0_Ev8ABC_dims24hipblaslt_initializationbPT_mmmmmEUlmE3_EvS5_mmT0_,"axG",@progbits,_Z11fill_kernelI13hipblaslt_bf8Z21hipblaslt_init_deviceIS0_Ev8ABC_dims24hipblaslt_initializationbPT_mmmmmEUlmE3_EvS5_mmT0_,comdat
	.protected	_Z11fill_kernelI13hipblaslt_bf8Z21hipblaslt_init_deviceIS0_Ev8ABC_dims24hipblaslt_initializationbPT_mmmmmEUlmE3_EvS5_mmT0_ ; -- Begin function _Z11fill_kernelI13hipblaslt_bf8Z21hipblaslt_init_deviceIS0_Ev8ABC_dims24hipblaslt_initializationbPT_mmmmmEUlmE3_EvS5_mmT0_
	.globl	_Z11fill_kernelI13hipblaslt_bf8Z21hipblaslt_init_deviceIS0_Ev8ABC_dims24hipblaslt_initializationbPT_mmmmmEUlmE3_EvS5_mmT0_
	.p2align	8
	.type	_Z11fill_kernelI13hipblaslt_bf8Z21hipblaslt_init_deviceIS0_Ev8ABC_dims24hipblaslt_initializationbPT_mmmmmEUlmE3_EvS5_mmT0_,@function
_Z11fill_kernelI13hipblaslt_bf8Z21hipblaslt_init_deviceIS0_Ev8ABC_dims24hipblaslt_initializationbPT_mmmmmEUlmE3_EvS5_mmT0_: ; @_Z11fill_kernelI13hipblaslt_bf8Z21hipblaslt_init_deviceIS0_Ev8ABC_dims24hipblaslt_initializationbPT_mmmmmEUlmE3_EvS5_mmT0_
; %bb.0:
	s_clause 0x1
	s_load_b32 s2, s[0:1], 0x44
	s_load_b128 s[12:15], s[0:1], 0x0
	s_bfe_u32 s3, ttmp6, 0x4000c
	s_and_b32 s4, ttmp6, 15
	s_add_co_i32 s3, s3, 1
	s_getreg_b32 s5, hwreg(HW_REG_IB_STS2, 6, 4)
	s_mul_i32 s3, ttmp9, s3
	v_mov_b32_e32 v3, 0
	s_add_co_i32 s4, s4, s3
	s_wait_kmcnt 0x0
	s_and_b32 s2, s2, 0xffff
	s_cmp_eq_u32 s5, 0
	s_cselect_b32 s3, ttmp9, s4
	s_delay_alu instid0(SALU_CYCLE_1) | instskip(SKIP_1) | instid1(VALU_DEP_1)
	v_mad_u32 v2, s3, s2, v0
	s_mov_b32 s2, exec_lo
	v_cmpx_gt_u64_e64 s[14:15], v[2:3]
	s_cbranch_execz .LBB81_36
; %bb.1:
	s_clause 0x1
	s_load_b64 s[2:3], s[0:1], 0x10
	s_load_b256 s[4:11], s[0:1], 0x18
	s_wait_xcnt 0x0
	s_mov_b32 s0, exec_lo
	v_mov_b32_e32 v4, v3
	s_wait_kmcnt 0x0
	v_add_nc_u64_e32 v[0:1], s[2:3], v[2:3]
                                        ; implicit-def: $vgpr2_vgpr3
	s_delay_alu instid0(VALU_DEP_1) | instskip(NEXT) | instid1(VALU_DEP_1)
	v_or_b32_e32 v5, s9, v1
	v_cmpx_ne_u64_e32 0, v[4:5]
	s_xor_b32 s1, exec_lo, s0
	s_cbranch_execz .LBB81_3
; %bb.2:
	s_cvt_f32_u32 s0, s8
	s_cvt_f32_u32 s2, s9
	s_sub_nc_u64 s[14:15], 0, s[8:9]
	s_mov_b32 s19, 0
	v_dual_mov_b32 v3, 0 :: v_dual_mov_b32 v2, v0
	s_fmamk_f32 s0, s2, 0x4f800000, s0
	s_delay_alu instid0(SALU_CYCLE_3) | instskip(NEXT) | instid1(TRANS32_DEP_1)
	v_s_rcp_f32 s0, s0
	s_mul_f32 s0, s0, 0x5f7ffffc
	s_delay_alu instid0(SALU_CYCLE_3) | instskip(NEXT) | instid1(SALU_CYCLE_3)
	s_mul_f32 s2, s0, 0x2f800000
	s_trunc_f32 s2, s2
	s_delay_alu instid0(SALU_CYCLE_3) | instskip(SKIP_1) | instid1(SALU_CYCLE_2)
	s_fmamk_f32 s0, s2, 0xcf800000, s0
	s_cvt_u32_f32 s3, s2
	s_cvt_u32_f32 s2, s0
	s_delay_alu instid0(SALU_CYCLE_3) | instskip(NEXT) | instid1(SALU_CYCLE_1)
	s_mul_u64 s[16:17], s[14:15], s[2:3]
	s_mul_hi_u32 s21, s2, s17
	s_mul_i32 s20, s2, s17
	s_mul_hi_u32 s18, s2, s16
	s_mul_i32 s22, s3, s16
	s_add_nc_u64 s[20:21], s[18:19], s[20:21]
	s_mul_hi_u32 s0, s3, s16
	s_mul_hi_u32 s23, s3, s17
	s_mul_i32 s16, s3, s17
	s_add_co_u32 s17, s20, s22
	s_add_co_ci_u32 s18, s21, s0
	s_add_co_ci_u32 s17, s23, 0
	s_delay_alu instid0(SALU_CYCLE_1) | instskip(NEXT) | instid1(SALU_CYCLE_1)
	s_add_nc_u64 s[16:17], s[18:19], s[16:17]
	s_add_co_u32 s2, s2, s16
	s_cselect_b32 s0, -1, 0
	s_delay_alu instid0(SALU_CYCLE_1) | instskip(SKIP_1) | instid1(SALU_CYCLE_1)
	s_cmp_lg_u32 s0, 0
	s_add_co_ci_u32 s3, s3, s17
	s_mul_u64 s[14:15], s[14:15], s[2:3]
	s_delay_alu instid0(SALU_CYCLE_1)
	s_mul_hi_u32 s17, s2, s15
	s_mul_i32 s16, s2, s15
	s_mul_hi_u32 s18, s2, s14
	s_mul_i32 s20, s3, s14
	s_add_nc_u64 s[16:17], s[18:19], s[16:17]
	s_mul_hi_u32 s0, s3, s14
	s_mul_hi_u32 s21, s3, s15
	s_mul_i32 s14, s3, s15
	s_add_co_u32 s15, s16, s20
	s_add_co_ci_u32 s18, s17, s0
	s_add_co_ci_u32 s15, s21, 0
	s_delay_alu instid0(SALU_CYCLE_1) | instskip(NEXT) | instid1(SALU_CYCLE_1)
	s_add_nc_u64 s[14:15], s[18:19], s[14:15]
	s_add_co_u32 s0, s2, s14
	s_cselect_b32 s2, -1, 0
	s_delay_alu instid0(SALU_CYCLE_1)
	s_cmp_lg_u32 s2, 0
	s_add_co_ci_u32 s18, s3, s15
	s_mov_b64 s[2:3], 0xffffffff
	v_mul_u64_e32 v[4:5], s[18:19], v[2:3]
	v_mul_hi_u32 v2, v0, s0
	s_and_b64 s[2:3], s[0:1], s[2:3]
	s_delay_alu instid0(VALU_DEP_1) | instskip(SKIP_1) | instid1(VALU_DEP_1)
	v_add_nc_u64_e32 v[4:5], v[2:3], v[4:5]
	v_mov_b32_e32 v2, v1
	v_mul_u64_e32 v[6:7], s[2:3], v[2:3]
	v_mul_u64_e32 v[8:9], s[18:19], v[2:3]
	s_delay_alu instid0(VALU_DEP_2) | instskip(NEXT) | instid1(VALU_DEP_3)
	v_add_co_u32 v2, vcc_lo, v4, v6
	v_add_co_ci_u32_e32 v2, vcc_lo, v5, v7, vcc_lo
	s_delay_alu instid0(VALU_DEP_3) | instskip(NEXT) | instid1(VALU_DEP_1)
	v_add_co_ci_u32_e32 v9, vcc_lo, 0, v9, vcc_lo
	v_add_nc_u64_e32 v[2:3], v[2:3], v[8:9]
	s_delay_alu instid0(VALU_DEP_1) | instskip(NEXT) | instid1(VALU_DEP_1)
	v_mul_u64_e32 v[4:5], s[8:9], v[2:3]
	v_sub_nc_u32_e32 v6, v1, v5
	s_delay_alu instid0(VALU_DEP_2) | instskip(NEXT) | instid1(VALU_DEP_1)
	v_sub_co_u32 v4, vcc_lo, v0, v4
	v_sub_co_ci_u32_e64 v11, null, v1, v5, vcc_lo
	s_delay_alu instid0(VALU_DEP_3) | instskip(NEXT) | instid1(VALU_DEP_3)
	v_subrev_co_ci_u32_e64 v6, null, s9, v6, vcc_lo
	v_sub_co_u32 v8, s0, v4, s8
	v_cmp_le_u32_e32 vcc_lo, s8, v4
	s_delay_alu instid0(VALU_DEP_3) | instskip(NEXT) | instid1(VALU_DEP_3)
	v_subrev_co_ci_u32_e64 v9, null, 0, v6, s0
	v_cmp_le_u32_e64 s0, s8, v8
	v_add_nc_u64_e32 v[6:7], 2, v[2:3]
	v_cndmask_b32_e64 v12, 0, -1, vcc_lo
	s_delay_alu instid0(VALU_DEP_4) | instskip(SKIP_3) | instid1(VALU_DEP_1)
	v_cmp_eq_u32_e32 vcc_lo, s9, v9
	v_add_nc_u64_e32 v[4:5], 1, v[2:3]
	v_cndmask_b32_e64 v8, 0, -1, s0
	v_cmp_le_u32_e64 s0, s9, v9
	v_cndmask_b32_e64 v10, 0, -1, s0
	v_cmp_eq_u32_e64 s0, s9, v11
	s_delay_alu instid0(VALU_DEP_2) | instskip(SKIP_2) | instid1(VALU_DEP_3)
	v_cndmask_b32_e32 v8, v10, v8, vcc_lo
	v_cmp_le_u32_e32 vcc_lo, s9, v11
	v_cndmask_b32_e64 v9, 0, -1, vcc_lo
	v_cmp_ne_u32_e32 vcc_lo, 0, v8
	s_delay_alu instid0(VALU_DEP_2) | instskip(SKIP_1) | instid1(VALU_DEP_2)
	v_dual_cndmask_b32 v8, v9, v12, s0 :: v_dual_cndmask_b32 v4, v4, v6, vcc_lo
	v_cndmask_b32_e32 v5, v5, v7, vcc_lo
	v_cmp_ne_u32_e32 vcc_lo, 0, v8
	s_delay_alu instid0(VALU_DEP_2)
	v_dual_cndmask_b32 v3, v3, v5 :: v_dual_cndmask_b32 v2, v2, v4
.LBB81_3:
	s_and_not1_saveexec_b32 s0, s1
	s_cbranch_execz .LBB81_5
; %bb.4:
	v_cvt_f32_u32_e32 v2, s8
	s_sub_co_i32 s1, 0, s8
	s_delay_alu instid0(VALU_DEP_1) | instskip(SKIP_1) | instid1(TRANS32_DEP_1)
	v_rcp_iflag_f32_e32 v2, v2
	v_nop
	v_mul_f32_e32 v2, 0x4f7ffffe, v2
	s_delay_alu instid0(VALU_DEP_1) | instskip(NEXT) | instid1(VALU_DEP_1)
	v_cvt_u32_f32_e32 v2, v2
	v_mul_lo_u32 v3, s1, v2
	s_delay_alu instid0(VALU_DEP_1) | instskip(NEXT) | instid1(VALU_DEP_1)
	v_mul_hi_u32 v3, v2, v3
	v_add_nc_u32_e32 v2, v2, v3
	s_delay_alu instid0(VALU_DEP_1) | instskip(NEXT) | instid1(VALU_DEP_1)
	v_mul_hi_u32 v2, v0, v2
	v_mul_lo_u32 v3, v2, s8
	s_delay_alu instid0(VALU_DEP_1) | instskip(NEXT) | instid1(VALU_DEP_1)
	v_dual_add_nc_u32 v4, 1, v2 :: v_dual_sub_nc_u32 v3, v0, v3
	v_subrev_nc_u32_e32 v5, s8, v3
	v_cmp_le_u32_e32 vcc_lo, s8, v3
	s_delay_alu instid0(VALU_DEP_2) | instskip(NEXT) | instid1(VALU_DEP_1)
	v_dual_cndmask_b32 v3, v3, v5 :: v_dual_cndmask_b32 v2, v2, v4
	v_cmp_le_u32_e32 vcc_lo, s8, v3
	s_delay_alu instid0(VALU_DEP_2) | instskip(NEXT) | instid1(VALU_DEP_1)
	v_dual_mov_b32 v3, 0 :: v_dual_add_nc_u32 v4, 1, v2
	v_cndmask_b32_e32 v2, v2, v4, vcc_lo
.LBB81_5:
	s_or_b32 exec_lo, exec_lo, s0
	s_delay_alu instid0(VALU_DEP_1) | instskip(SKIP_2) | instid1(VALU_DEP_2)
	v_mul_u64_e32 v[4:5], s[8:9], v[2:3]
                                        ; implicit-def: $vgpr8_vgpr9
	s_mov_b32 s0, exec_lo
	v_mov_b32_e32 v6, 0
	v_sub_nc_u64_e32 v[4:5], v[0:1], v[4:5]
	s_delay_alu instid0(VALU_DEP_1) | instskip(NEXT) | instid1(VALU_DEP_1)
	v_or_b32_e32 v7, s11, v5
	v_cmpx_ne_u64_e32 0, v[6:7]
	s_xor_b32 s1, exec_lo, s0
	s_cbranch_execz .LBB81_7
; %bb.6:
	s_cvt_f32_u32 s0, s10
	s_cvt_f32_u32 s2, s11
	s_sub_nc_u64 s[8:9], 0, s[10:11]
	s_mov_b32 s17, 0
	v_dual_mov_b32 v8, v4 :: v_dual_mov_b32 v9, v6
	s_fmamk_f32 s0, s2, 0x4f800000, s0
	v_dual_mov_b32 v10, v5 :: v_dual_mov_b32 v11, v6
	v_dual_mov_b32 v15, v6 :: v_dual_mov_b32 v7, v6
	s_delay_alu instid0(SALU_CYCLE_1) | instskip(NEXT) | instid1(TRANS32_DEP_1)
	v_s_rcp_f32 s0, s0
	s_mul_f32 s0, s0, 0x5f7ffffc
	s_delay_alu instid0(SALU_CYCLE_3) | instskip(NEXT) | instid1(SALU_CYCLE_3)
	s_mul_f32 s2, s0, 0x2f800000
	s_trunc_f32 s2, s2
	s_delay_alu instid0(SALU_CYCLE_3) | instskip(SKIP_1) | instid1(SALU_CYCLE_2)
	s_fmamk_f32 s0, s2, 0xcf800000, s0
	s_cvt_u32_f32 s3, s2
	s_cvt_u32_f32 s2, s0
	s_delay_alu instid0(SALU_CYCLE_3) | instskip(NEXT) | instid1(SALU_CYCLE_1)
	s_mul_u64 s[14:15], s[8:9], s[2:3]
	s_mul_hi_u32 s19, s2, s15
	s_mul_i32 s18, s2, s15
	s_mul_hi_u32 s16, s2, s14
	s_mul_i32 s20, s3, s14
	s_add_nc_u64 s[18:19], s[16:17], s[18:19]
	s_mul_hi_u32 s0, s3, s14
	s_mul_hi_u32 s21, s3, s15
	s_mul_i32 s14, s3, s15
	s_add_co_u32 s15, s18, s20
	s_add_co_ci_u32 s16, s19, s0
	s_add_co_ci_u32 s15, s21, 0
	s_delay_alu instid0(SALU_CYCLE_1) | instskip(NEXT) | instid1(SALU_CYCLE_1)
	s_add_nc_u64 s[14:15], s[16:17], s[14:15]
	s_add_co_u32 s2, s2, s14
	s_cselect_b32 s0, -1, 0
	s_delay_alu instid0(SALU_CYCLE_1) | instskip(SKIP_1) | instid1(SALU_CYCLE_1)
	s_cmp_lg_u32 s0, 0
	s_add_co_ci_u32 s3, s3, s15
	s_mul_u64 s[8:9], s[8:9], s[2:3]
	s_delay_alu instid0(SALU_CYCLE_1)
	s_mul_hi_u32 s15, s2, s9
	s_mul_i32 s14, s2, s9
	s_mul_hi_u32 s16, s2, s8
	s_mul_i32 s18, s3, s8
	s_add_nc_u64 s[14:15], s[16:17], s[14:15]
	s_mul_hi_u32 s0, s3, s8
	s_mul_hi_u32 s19, s3, s9
	s_mul_i32 s8, s3, s9
	s_add_co_u32 s9, s14, s18
	s_add_co_ci_u32 s16, s15, s0
	s_add_co_ci_u32 s9, s19, 0
	s_delay_alu instid0(SALU_CYCLE_1) | instskip(NEXT) | instid1(SALU_CYCLE_1)
	s_add_nc_u64 s[8:9], s[16:17], s[8:9]
	s_add_co_u32 s0, s2, s8
	s_cselect_b32 s2, -1, 0
	v_nop
	v_mul_hi_u32 v14, v4, s0
	s_cmp_lg_u32 s2, 0
	s_add_co_ci_u32 s16, s3, s9
	s_mov_b64 s[2:3], 0xffffffff
	v_mul_u64_e32 v[8:9], s[16:17], v[8:9]
	s_and_b64 s[2:3], s[0:1], s[2:3]
	s_delay_alu instid0(SALU_CYCLE_1) | instskip(SKIP_1) | instid1(VALU_DEP_3)
	v_mul_u64_e32 v[12:13], s[2:3], v[10:11]
	v_mul_u64_e32 v[10:11], s[16:17], v[10:11]
	v_add_nc_u64_e32 v[8:9], v[14:15], v[8:9]
	s_delay_alu instid0(VALU_DEP_1) | instskip(NEXT) | instid1(VALU_DEP_2)
	v_add_co_u32 v6, vcc_lo, v8, v12
	v_add_co_ci_u32_e32 v6, vcc_lo, v9, v13, vcc_lo
	s_delay_alu instid0(VALU_DEP_4) | instskip(NEXT) | instid1(VALU_DEP_1)
	v_add_co_ci_u32_e32 v11, vcc_lo, 0, v11, vcc_lo
	v_add_nc_u64_e32 v[6:7], v[6:7], v[10:11]
	s_delay_alu instid0(VALU_DEP_1) | instskip(NEXT) | instid1(VALU_DEP_1)
	v_mul_u64_e32 v[8:9], s[10:11], v[6:7]
	v_sub_nc_u32_e32 v10, v5, v9
	s_delay_alu instid0(VALU_DEP_2) | instskip(NEXT) | instid1(VALU_DEP_1)
	v_sub_co_u32 v8, vcc_lo, v4, v8
	v_sub_co_ci_u32_e64 v15, null, v5, v9, vcc_lo
	s_delay_alu instid0(VALU_DEP_3) | instskip(NEXT) | instid1(VALU_DEP_3)
	v_subrev_co_ci_u32_e64 v10, null, s11, v10, vcc_lo
	v_sub_co_u32 v12, s0, v8, s10
	v_cmp_le_u32_e32 vcc_lo, s10, v8
	s_delay_alu instid0(VALU_DEP_3) | instskip(NEXT) | instid1(VALU_DEP_3)
	v_subrev_co_ci_u32_e64 v13, null, 0, v10, s0
	v_cmp_le_u32_e64 s0, s10, v12
	v_add_nc_u64_e32 v[10:11], 2, v[6:7]
	v_cndmask_b32_e64 v16, 0, -1, vcc_lo
	s_delay_alu instid0(VALU_DEP_4) | instskip(SKIP_3) | instid1(VALU_DEP_1)
	v_cmp_eq_u32_e32 vcc_lo, s11, v13
	v_add_nc_u64_e32 v[8:9], 1, v[6:7]
	v_cndmask_b32_e64 v12, 0, -1, s0
	v_cmp_le_u32_e64 s0, s11, v13
	v_cndmask_b32_e64 v14, 0, -1, s0
	v_cmp_eq_u32_e64 s0, s11, v15
	s_delay_alu instid0(VALU_DEP_2) | instskip(SKIP_2) | instid1(VALU_DEP_3)
	v_cndmask_b32_e32 v12, v14, v12, vcc_lo
	v_cmp_le_u32_e32 vcc_lo, s11, v15
	v_cndmask_b32_e64 v13, 0, -1, vcc_lo
	v_cmp_ne_u32_e32 vcc_lo, 0, v12
	s_delay_alu instid0(VALU_DEP_2) | instskip(SKIP_1) | instid1(VALU_DEP_2)
	v_dual_cndmask_b32 v12, v13, v16, s0 :: v_dual_cndmask_b32 v8, v8, v10, vcc_lo
	v_cndmask_b32_e32 v9, v9, v11, vcc_lo
	v_cmp_ne_u32_e32 vcc_lo, 0, v12
	s_delay_alu instid0(VALU_DEP_2)
	v_dual_cndmask_b32 v8, v6, v8 :: v_dual_cndmask_b32 v9, v7, v9
.LBB81_7:
	s_and_not1_saveexec_b32 s0, s1
	s_cbranch_execz .LBB81_9
; %bb.8:
	v_cvt_f32_u32_e32 v6, s10
	s_sub_co_i32 s1, 0, s10
	s_delay_alu instid0(VALU_DEP_1) | instskip(SKIP_1) | instid1(TRANS32_DEP_1)
	v_rcp_iflag_f32_e32 v6, v6
	v_nop
	v_mul_f32_e32 v6, 0x4f7ffffe, v6
	s_delay_alu instid0(VALU_DEP_1) | instskip(NEXT) | instid1(VALU_DEP_1)
	v_cvt_u32_f32_e32 v6, v6
	v_mul_lo_u32 v7, s1, v6
	s_delay_alu instid0(VALU_DEP_1) | instskip(NEXT) | instid1(VALU_DEP_1)
	v_mul_hi_u32 v7, v6, v7
	v_add_nc_u32_e32 v6, v6, v7
	s_delay_alu instid0(VALU_DEP_1) | instskip(NEXT) | instid1(VALU_DEP_1)
	v_mul_hi_u32 v6, v4, v6
	v_mul_lo_u32 v7, v6, s10
	s_delay_alu instid0(VALU_DEP_1) | instskip(NEXT) | instid1(VALU_DEP_1)
	v_dual_add_nc_u32 v8, 1, v6 :: v_dual_sub_nc_u32 v7, v4, v7
	v_subrev_nc_u32_e32 v9, s10, v7
	v_cmp_le_u32_e32 vcc_lo, s10, v7
	s_delay_alu instid0(VALU_DEP_2) | instskip(NEXT) | instid1(VALU_DEP_4)
	v_dual_cndmask_b32 v7, v7, v9, vcc_lo :: v_dual_mov_b32 v9, 0
	v_cndmask_b32_e32 v6, v6, v8, vcc_lo
	s_delay_alu instid0(VALU_DEP_2) | instskip(NEXT) | instid1(VALU_DEP_2)
	v_cmp_le_u32_e32 vcc_lo, s10, v7
	v_add_nc_u32_e32 v8, 1, v6
	s_delay_alu instid0(VALU_DEP_1)
	v_cndmask_b32_e32 v8, v6, v8, vcc_lo
.LBB81_9:
	s_or_b32 exec_lo, exec_lo, s0
	s_delay_alu instid0(VALU_DEP_1) | instskip(SKIP_1) | instid1(VALU_DEP_1)
	v_mul_u64_e32 v[6:7], s[10:11], v[8:9]
	v_mad_nc_u64_u32 v[8:9], v2, s6, v[8:9]
	v_mad_u32 v3, v3, s6, v9
	s_delay_alu instid0(VALU_DEP_1) | instskip(NEXT) | instid1(VALU_DEP_4)
	v_mad_u32 v2, v2, s7, v3
	v_sub_nc_u64_e32 v[4:5], v[4:5], v[6:7]
	s_delay_alu instid0(VALU_DEP_1) | instskip(NEXT) | instid1(VALU_DEP_1)
	v_mad_nc_u64_u32 v[4:5], v8, s4, v[4:5]
	v_mad_u32 v2, v2, s4, v5
	s_delay_alu instid0(VALU_DEP_2) | instskip(NEXT) | instid1(VALU_DEP_2)
	v_cvt_f64_u32_e32 v[6:7], v4
	v_mad_u32 v5, v8, s5, v2
                                        ; implicit-def: $vgpr8
	s_delay_alu instid0(VALU_DEP_1) | instskip(SKIP_1) | instid1(VALU_DEP_2)
	v_cvt_f64_u32_e32 v[2:3], v5
	v_cmp_lt_u64_e32 vcc_lo, 0x3fffffff, v[4:5]
                                        ; implicit-def: $vgpr4_vgpr5
	v_ldexp_f64 v[2:3], v[2:3], 32
	s_delay_alu instid0(VALU_DEP_1) | instskip(SKIP_1) | instid1(SALU_CYCLE_1)
	v_add_f64_e32 v[2:3], v[2:3], v[6:7]
                                        ; implicit-def: $vgpr6_vgpr7
	s_and_saveexec_b32 s0, vcc_lo
	s_xor_b32 s0, exec_lo, s0
	s_cbranch_execz .LBB81_11
; %bb.10:
	s_delay_alu instid0(VALU_DEP_1) | instskip(SKIP_3) | instid1(VALU_DEP_3)
	v_trig_preop_f64 v[4:5], v[2:3], 0
	v_trig_preop_f64 v[6:7], v[2:3], 1
	;; [unrolled: 1-line block ×3, first 2 shown]
	s_mov_b64 s[2:3], 0x3ff921fb54442d18
	v_dual_mul_f64 v[8:9], v[4:5], v[2:3] :: v_dual_mov_b32 v24, 0
	s_delay_alu instid0(VALU_DEP_3) | instskip(NEXT) | instid1(VALU_DEP_3)
	v_mul_f64_e32 v[10:11], v[6:7], v[2:3]
	v_mul_f64_e32 v[22:23], v[16:17], v[2:3]
	s_delay_alu instid0(VALU_DEP_3) | instskip(NEXT) | instid1(VALU_DEP_3)
	v_fma_f64 v[4:5], v[4:5], v[2:3], -v[8:9]
	v_fma_f64 v[6:7], v[6:7], v[2:3], -v[10:11]
	s_delay_alu instid0(VALU_DEP_3) | instskip(NEXT) | instid1(VALU_DEP_3)
	v_fma_f64 v[2:3], v[16:17], v[2:3], -v[22:23]
	v_add_f64_e32 v[12:13], v[10:11], v[4:5]
	s_delay_alu instid0(VALU_DEP_1) | instskip(SKIP_1) | instid1(VALU_DEP_2)
	v_add_f64_e64 v[14:15], v[12:13], -v[10:11]
	v_add_f64_e32 v[20:21], v[8:9], v[12:13]
	v_add_f64_e64 v[18:19], v[12:13], -v[14:15]
	v_add_f64_e64 v[4:5], v[4:5], -v[14:15]
	s_delay_alu instid0(VALU_DEP_3) | instskip(NEXT) | instid1(VALU_DEP_3)
	v_ldexp_f64 v[14:15], v[20:21], -2
	v_add_f64_e64 v[10:11], v[10:11], -v[18:19]
	v_add_f64_e32 v[18:19], v[22:23], v[6:7]
	s_delay_alu instid0(VALU_DEP_3) | instskip(NEXT) | instid1(VALU_DEP_3)
	v_cmp_neq_f64_e64 vcc_lo, 0x7ff00000, |v[14:15]|
	v_add_f64_e32 v[4:5], v[4:5], v[10:11]
	v_fract_f64_e32 v[10:11], v[14:15]
	s_delay_alu instid0(VALU_DEP_1) | instskip(NEXT) | instid1(VALU_DEP_1)
	v_ldexp_f64 v[10:11], v[10:11], 2
	v_dual_add_f64 v[8:9], v[20:21], -v[8:9] :: v_dual_cndmask_b32 v10, 0, v10, vcc_lo
	s_delay_alu instid0(VALU_DEP_1) | instskip(SKIP_1) | instid1(VALU_DEP_1)
	v_dual_add_f64 v[8:9], v[12:13], -v[8:9] :: v_dual_cndmask_b32 v11, 0, v11, vcc_lo
	v_add_f64_e32 v[12:13], v[18:19], v[4:5]
	v_add_f64_e32 v[14:15], v[8:9], v[12:13]
	v_add_f64_e64 v[26:27], v[12:13], -v[18:19]
	s_delay_alu instid0(VALU_DEP_2) | instskip(NEXT) | instid1(VALU_DEP_2)
	v_add_f64_e32 v[20:21], v[14:15], v[10:11]
	v_add_f64_e64 v[32:33], v[12:13], -v[26:27]
	v_add_f64_e64 v[4:5], v[4:5], -v[26:27]
	;; [unrolled: 1-line block ×3, first 2 shown]
	s_delay_alu instid0(VALU_DEP_4) | instskip(SKIP_1) | instid1(VALU_DEP_3)
	v_cmp_gt_f64_e32 vcc_lo, 0, v[20:21]
	v_add_f64_e64 v[20:21], v[18:19], -v[22:23]
	v_add_f64_e64 v[8:9], v[12:13], -v[8:9]
	v_cndmask_b32_e64 v25, 0, 0x40100000, vcc_lo
	s_delay_alu instid0(VALU_DEP_3) | instskip(SKIP_2) | instid1(VALU_DEP_4)
	v_add_f64_e64 v[30:31], v[18:19], -v[20:21]
	v_add_f64_e64 v[6:7], v[6:7], -v[20:21]
	v_add_f64_e64 v[18:19], v[18:19], -v[32:33]
	v_add_f64_e32 v[10:11], v[10:11], v[24:25]
	s_delay_alu instid0(VALU_DEP_4) | instskip(NEXT) | instid1(VALU_DEP_3)
	v_add_f64_e64 v[20:21], v[22:23], -v[30:31]
	v_add_f64_e32 v[4:5], v[4:5], v[18:19]
	s_delay_alu instid0(VALU_DEP_3) | instskip(NEXT) | instid1(VALU_DEP_3)
	v_add_f64_e32 v[28:29], v[14:15], v[10:11]
	v_add_f64_e32 v[6:7], v[6:7], v[20:21]
	s_delay_alu instid0(VALU_DEP_2) | instskip(NEXT) | instid1(VALU_DEP_2)
	v_cvt_i32_f64_e32 v25, v[28:29]
	v_add_f64_e32 v[4:5], v[6:7], v[4:5]
	s_delay_alu instid0(VALU_DEP_2) | instskip(NEXT) | instid1(VALU_DEP_2)
	v_cvt_f64_i32_e32 v[26:27], v25
	v_add_f64_e32 v[2:3], v[2:3], v[4:5]
	s_delay_alu instid0(VALU_DEP_2) | instskip(NEXT) | instid1(VALU_DEP_2)
	v_add_f64_e64 v[10:11], v[10:11], -v[26:27]
	v_add_f64_e32 v[2:3], v[8:9], v[2:3]
	s_delay_alu instid0(VALU_DEP_2) | instskip(NEXT) | instid1(VALU_DEP_1)
	v_add_f64_e32 v[6:7], v[14:15], v[10:11]
	v_add_f64_e64 v[4:5], v[6:7], -v[10:11]
	v_cmp_le_f64_e32 vcc_lo, 0.5, v[6:7]
	s_delay_alu instid0(VALU_DEP_2) | instskip(SKIP_2) | instid1(VALU_DEP_3)
	v_add_f64_e64 v[4:5], v[14:15], -v[4:5]
	v_add_co_ci_u32_e64 v8, null, 0, v25, vcc_lo
	v_cndmask_b32_e64 v25, 0, 0x3ff00000, vcc_lo
	v_add_f64_e32 v[2:3], v[2:3], v[4:5]
	s_delay_alu instid0(VALU_DEP_2) | instskip(NEXT) | instid1(VALU_DEP_1)
	v_add_f64_e64 v[4:5], v[6:7], -v[24:25]
	v_add_f64_e32 v[6:7], v[4:5], v[2:3]
	s_delay_alu instid0(VALU_DEP_1) | instskip(SKIP_1) | instid1(VALU_DEP_2)
	v_mul_f64_e32 v[10:11], 0x3ff921fb54442d18, v[6:7]
	v_add_f64_e64 v[4:5], v[6:7], -v[4:5]
	v_fma_f64 v[12:13], v[6:7], s[2:3], -v[10:11]
	s_delay_alu instid0(VALU_DEP_2) | instskip(NEXT) | instid1(VALU_DEP_2)
	v_add_f64_e64 v[2:3], v[2:3], -v[4:5]
	v_fmamk_f64 v[6:7], v[6:7], 0x3c91a62633145c07, v[12:13]
	s_delay_alu instid0(VALU_DEP_1) | instskip(NEXT) | instid1(VALU_DEP_1)
	v_fmac_f64_e32 v[6:7], 0x3ff921fb54442d18, v[2:3]
	v_add_f64_e32 v[4:5], v[10:11], v[6:7]
	s_delay_alu instid0(VALU_DEP_1) | instskip(NEXT) | instid1(VALU_DEP_1)
	v_add_f64_e64 v[2:3], v[4:5], -v[10:11]
	v_add_f64_e64 v[6:7], v[6:7], -v[2:3]
                                        ; implicit-def: $vgpr2_vgpr3
.LBB81_11:
	s_and_not1_saveexec_b32 s0, s0
	s_cbranch_execz .LBB81_13
; %bb.12:
	s_delay_alu instid0(VALU_DEP_1) | instskip(NEXT) | instid1(VALU_DEP_1)
	v_mul_f64_e32 v[4:5], 0x3fe45f306dc9c883, v[2:3]
	v_rndne_f64_e32 v[8:9], v[4:5]
	s_delay_alu instid0(VALU_DEP_1) | instskip(SKIP_1) | instid1(VALU_DEP_1)
	v_mul_f64_e32 v[4:5], 0xbc91a62633145c00, v[8:9]
	v_fmamk_f64 v[2:3], v[8:9], 0xbff921fb54442d18, v[2:3]
	v_add_f64_e32 v[6:7], v[2:3], v[4:5]
	s_delay_alu instid0(VALU_DEP_1) | instskip(SKIP_1) | instid1(VALU_DEP_1)
	v_add_f64_e64 v[10:11], v[2:3], -v[6:7]
	v_fmamk_f64 v[2:3], v[8:9], 0xbc91a62633145c00, v[2:3]
	v_add_f64_e64 v[6:7], v[6:7], -v[2:3]
	s_delay_alu instid0(VALU_DEP_3) | instskip(SKIP_1) | instid1(VALU_DEP_2)
	v_add_f64_e32 v[10:11], v[10:11], v[4:5]
	v_fmamk_f64 v[4:5], v[8:9], 0x3c91a62633145c00, v[4:5]
	v_add_f64_e32 v[6:7], v[6:7], v[10:11]
	s_delay_alu instid0(VALU_DEP_1) | instskip(NEXT) | instid1(VALU_DEP_1)
	v_add_f64_e64 v[4:5], v[6:7], -v[4:5]
	v_fmamk_f64 v[6:7], v[8:9], 0xb97b839a252049c0, v[4:5]
	v_cvt_i32_f64_e32 v8, v[8:9]
	s_delay_alu instid0(VALU_DEP_2) | instskip(NEXT) | instid1(VALU_DEP_1)
	v_add_f64_e32 v[4:5], v[2:3], v[6:7]
	v_add_f64_e64 v[2:3], v[4:5], -v[2:3]
	s_delay_alu instid0(VALU_DEP_1)
	v_add_f64_e64 v[6:7], v[6:7], -v[2:3]
.LBB81_13:
	s_or_b32 exec_lo, exec_lo, s0
	v_mul_f64_e32 v[2:3], v[4:5], v[4:5]
	s_delay_alu instid0(VALU_DEP_2) | instskip(SKIP_1) | instid1(VALU_DEP_2)
	v_mul_f64_e32 v[16:17], 0.5, v[6:7]
	s_mov_b64 s[0:1], 0x3de5e0b2f9a43bb8
	v_mul_f64_e32 v[10:11], 0.5, v[2:3]
	v_mul_f64_e64 v[18:19], v[4:5], -v[2:3]
	v_fmaak_f64 v[20:21], s[0:1], v[2:3], 0xbe5ae600b42fdfa7
	s_mov_b64 s[0:1], 0xbda907db46cc5e42
	s_delay_alu instid0(VALU_DEP_1) | instskip(NEXT) | instid1(VALU_DEP_4)
	v_fmaak_f64 v[20:21], v[2:3], v[20:21], 0x3ec71de3796cde01
	v_add_f64_e64 v[12:13], -v[10:11], 1.0
	s_delay_alu instid0(VALU_DEP_1) | instskip(NEXT) | instid1(VALU_DEP_1)
	v_add_f64_e64 v[14:15], -v[12:13], 1.0
	v_add_f64_e64 v[10:11], v[14:15], -v[10:11]
	s_delay_alu instid0(VALU_DEP_4) | instskip(SKIP_1) | instid1(VALU_DEP_2)
	v_fmaak_f64 v[14:15], v[2:3], v[20:21], 0xbf2a01a019e83e5c
	v_mul_f64_e32 v[20:21], v[2:3], v[2:3]
	v_fmaak_f64 v[14:15], v[2:3], v[14:15], 0x3f81111111110bb3
	s_delay_alu instid0(VALU_DEP_1) | instskip(SKIP_2) | instid1(VALU_DEP_1)
	v_fmac_f64_e32 v[16:17], v[18:19], v[14:15]
	v_fmaak_f64 v[14:15], s[0:1], v[2:3], 0x3e21eeb69037ab78
	s_mov_b64 s[0:1], 0x7ff0000000000000
	v_fmaak_f64 v[14:15], v[2:3], v[14:15], 0xbe927e4fa17f65f6
	s_delay_alu instid0(VALU_DEP_1) | instskip(SKIP_1) | instid1(VALU_DEP_2)
	v_fmaak_f64 v[14:15], v[2:3], v[14:15], 0x3efa01a019f4ec90
	v_fma_f64 v[10:11], v[4:5], -v[6:7], v[10:11]
	v_fmaak_f64 v[14:15], v[2:3], v[14:15], 0xbf56c16c16c16967
	v_fma_f64 v[6:7], v[2:3], v[16:17], -v[6:7]
	s_delay_alu instid0(VALU_DEP_2) | instskip(NEXT) | instid1(VALU_DEP_1)
	v_fmaak_f64 v[2:3], v[2:3], v[14:15], 0x3fa5555555555555
	v_fmac_f64_e32 v[10:11], v[20:21], v[2:3]
	s_delay_alu instid0(VALU_DEP_3) | instskip(SKIP_1) | instid1(VALU_DEP_1)
	v_fmamk_f64 v[2:3], v[18:19], 0xbfc5555555555555, v[6:7]
	v_dual_lshlrev_b32 v7, 30, v8 :: v_dual_bitop2_b32 v6, 1, v8 bitop3:0x40
	v_cmp_eq_u32_e32 vcc_lo, 0, v6
	s_delay_alu instid0(VALU_DEP_3) | instskip(NEXT) | instid1(VALU_DEP_3)
	v_add_f64_e64 v[2:3], v[4:5], -v[2:3]
	v_and_b32_e32 v6, 0x80000000, v7
	v_add_f64_e32 v[4:5], v[12:13], v[10:11]
	s_delay_alu instid0(VALU_DEP_3) | instskip(NEXT) | instid1(VALU_DEP_1)
	v_xor_b32_e32 v3, 0x80000000, v3
	v_dual_cndmask_b32 v8, v3, v5, vcc_lo :: v_dual_cndmask_b32 v2, v2, v4, vcc_lo
	v_mov_b32_e32 v4, 0
	s_delay_alu instid0(VALU_DEP_2) | instskip(SKIP_1) | instid1(VALU_DEP_2)
	v_bitop3_b32 v5, v8, 0x7ff00000, v6 bitop3:0x48
	v_bitop3_b32 v3, v8, v7, 0x80000000 bitop3:0x78
	v_cmp_ne_u64_e32 vcc_lo, s[0:1], v[4:5]
	v_bitop3_b32 v5, v8, 0xfffff, v6 bitop3:0x48
	v_mov_b32_e32 v4, v2
                                        ; implicit-def: $vgpr6
	s_and_saveexec_b32 s0, vcc_lo
	s_delay_alu instid0(SALU_CYCLE_1)
	s_xor_b32 s2, exec_lo, s0
	s_cbranch_execz .LBB81_29
; %bb.14:
	v_and_b32_e32 v7, 0x7fffffff, v3
	v_dual_mov_b32 v6, v2 :: v_dual_lshrrev_b32 v8, 24, v3
	s_mov_b64 s[0:1], 0x40ec000000000001
	s_delay_alu instid0(VALU_DEP_1) | instid1(SALU_CYCLE_1)
	v_cmp_gt_u64_e32 vcc_lo, s[0:1], v[6:7]
	s_delay_alu instid0(VALU_DEP_2) | instskip(SKIP_1) | instid1(SALU_CYCLE_1)
	v_and_b32_e32 v8, 0x80, v8
                                        ; implicit-def: $vgpr6
	s_and_saveexec_b32 s0, vcc_lo
	s_xor_b32 s3, exec_lo, s0
	s_cbranch_execz .LBB81_26
; %bb.15:
	v_mov_b32_e32 v6, 0
	s_mov_b32 s4, exec_lo
	v_cmpx_ne_u64_e32 0, v[2:3]
	s_cbranch_execz .LBB81_25
; %bb.16:
	v_bfe_u32 v9, v3, 20, 11
	v_or_b32_e32 v3, 0x100000, v5
	s_mov_b32 s5, 0
	s_delay_alu instid0(VALU_DEP_2) | instskip(SKIP_1) | instid1(VALU_DEP_2)
	v_sub_nc_u32_e64 v2, 0x3f1, v9 clamp
	v_cmp_eq_u32_e32 vcc_lo, 0, v9
	v_cndmask_b32_e64 v14, v2, 0x3f0, vcc_lo
	s_delay_alu instid0(VALU_DEP_1) | instskip(SKIP_1) | instid1(VALU_DEP_2)
	v_dual_cndmask_b32 v5, v3, v5 :: v_dual_add_nc_u32 v6, 50, v14
	v_add_nc_u32_e32 v7, 49, v14
	v_lshrrev_b64 v[2:3], v14, v[4:5]
	s_delay_alu instid0(VALU_DEP_3) | instskip(SKIP_1) | instid1(VALU_DEP_4)
	v_lshlrev_b64_e64 v[10:11], v6, -1
	v_mov_b32_e32 v6, 0
	v_lshlrev_b64_e64 v[12:13], v7, 1
	s_delay_alu instid0(VALU_DEP_4) | instskip(NEXT) | instid1(VALU_DEP_4)
	v_and_b32_e32 v7, 0x40000, v3
	v_bfi_b32 v5, v11, 0, v5
	v_bfi_b32 v4, v10, 0, v4
	s_delay_alu instid0(VALU_DEP_3) | instskip(SKIP_2) | instid1(VALU_DEP_4)
	v_cmp_eq_u64_e64 s0, 0, v[6:7]
	v_add_nc_u32_e32 v7, 0xfffffc10, v9
	v_lshrrev_b32_e32 v9, 20, v3
	v_cmp_eq_u64_e64 s1, v[4:5], v[12:13]
	v_mov_b32_e32 v5, s5
	s_delay_alu instid0(VALU_DEP_4) | instskip(SKIP_1) | instid1(SALU_CYCLE_1)
	v_cndmask_b32_e64 v7, v7, 0xfffffc11, vcc_lo
	s_and_b32 s0, s0, s1
	v_cndmask_b32_e64 v4, 0, 1, s0
	s_mov_b32 s0, exec_lo
	s_delay_alu instid0(VALU_DEP_1) | instskip(SKIP_1) | instid1(VALU_DEP_1)
	v_sub_nc_u64_e32 v[10:11], v[2:3], v[4:5]
	v_add3_u32 v5, v7, v14, v9
                                        ; implicit-def: $vgpr4
	v_add_nc_u32_e32 v9, -1, v5
	s_delay_alu instid0(VALU_DEP_3) | instskip(NEXT) | instid1(VALU_DEP_1)
	v_and_b32_e32 v11, 0x3ffff, v11
	v_add_nc_u64_e32 v[2:3], v[10:11], v[2:3]
	s_delay_alu instid0(VALU_DEP_3)
	v_cmpx_ne_u32_e32 0, v9
	s_xor_b32 s0, exec_lo, s0
; %bb.17:
	s_delay_alu instid0(VALU_DEP_2) | instskip(SKIP_1) | instid1(VALU_DEP_2)
	v_and_b32_e32 v7, 0x200000, v3
	v_bfe_u32 v4, v3, 21, 1
	v_cmp_eq_u64_e32 vcc_lo, 0, v[6:7]
	s_delay_alu instid0(VALU_DEP_2)
	v_lshrrev_b64 v[2:3], v4, v[2:3]
	v_cndmask_b32_e32 v4, v5, v9, vcc_lo
; %bb.18:
	s_and_not1_saveexec_b32 s0, s0
; %bb.19:
	s_delay_alu instid0(VALU_DEP_2)
	v_bfe_u32 v4, v3, 20, 1
; %bb.20:
	s_or_b32 exec_lo, exec_lo, s0
	v_dual_mov_b32 v3, 0 :: v_dual_lshrrev_b32 v2, 18, v3
	s_delay_alu instid0(VALU_DEP_2) | instskip(SKIP_1) | instid1(VALU_DEP_3)
	v_cmp_gt_i32_e32 vcc_lo, 32, v4
	v_cmp_ne_u32_e64 s0, 0, v4
                                        ; implicit-def: $vgpr6
	v_cndmask_b32_e32 v2, 3, v2, vcc_lo
	s_delay_alu instid0(VALU_DEP_1) | instskip(SKIP_1) | instid1(SALU_CYCLE_1)
	v_cmp_ne_u64_e32 vcc_lo, 0, v[2:3]
	s_or_b32 s0, s0, vcc_lo
	s_and_saveexec_b32 s1, s0
	s_delay_alu instid0(SALU_CYCLE_1)
	s_xor_b32 s0, exec_lo, s1
; %bb.21:
	v_min_i32_e32 v3, 31, v4
	s_delay_alu instid0(VALU_DEP_1) | instskip(NEXT) | instid1(VALU_DEP_1)
	v_lshl_or_b32 v3, v3, 2, v8
                                        ; implicit-def: $vgpr8
	v_and_or_b32 v6, v2, 3, v3
; %bb.22:
	s_and_not1_saveexec_b32 s0, s0
; %bb.23:
	v_mov_b32_e32 v6, v8
; %bb.24:
	s_or_b32 exec_lo, exec_lo, s0
.LBB81_25:
	s_delay_alu instid0(SALU_CYCLE_1)
	s_or_b32 exec_lo, exec_lo, s4
                                        ; implicit-def: $vgpr8
.LBB81_26:
	s_and_not1_saveexec_b32 s0, s3
; %bb.27:
	v_or_b32_e32 v6, 0x7b, v8
; %bb.28:
	s_or_b32 exec_lo, exec_lo, s0
                                        ; implicit-def: $vgpr2_vgpr3
                                        ; implicit-def: $vgpr4_vgpr5
.LBB81_29:
	s_and_not1_saveexec_b32 s0, s2
	s_cbranch_execz .LBB81_35
; %bb.30:
	s_mov_b32 s1, exec_lo
                                        ; implicit-def: $vgpr6
	v_cmpx_ne_u64_e32 0, v[4:5]
	s_xor_b32 s1, exec_lo, s1
; %bb.31:
	v_lshrrev_b32_e32 v6, 24, v3
                                        ; implicit-def: $vgpr2_vgpr3
; %bb.32:
	s_and_not1_saveexec_b32 s1, s1
; %bb.33:
	v_cmp_lt_i64_e32 vcc_lo, -1, v[2:3]
	v_cndmask_b32_e64 v6, -4, 0x7c, vcc_lo
; %bb.34:
	s_or_b32 exec_lo, exec_lo, s1
.LBB81_35:
	s_delay_alu instid0(SALU_CYCLE_1)
	s_or_b32 exec_lo, exec_lo, s0
	v_add_nc_u64_e32 v[0:1], s[12:13], v[0:1]
	global_store_b8 v[0:1], v6, off
.LBB81_36:
	s_endpgm
	.section	.rodata,"a",@progbits
	.p2align	6, 0x0
	.amdhsa_kernel _Z11fill_kernelI13hipblaslt_bf8Z21hipblaslt_init_deviceIS0_Ev8ABC_dims24hipblaslt_initializationbPT_mmmmmEUlmE3_EvS5_mmT0_
		.amdhsa_group_segment_fixed_size 0
		.amdhsa_private_segment_fixed_size 0
		.amdhsa_kernarg_size 312
		.amdhsa_user_sgpr_count 2
		.amdhsa_user_sgpr_dispatch_ptr 0
		.amdhsa_user_sgpr_queue_ptr 0
		.amdhsa_user_sgpr_kernarg_segment_ptr 1
		.amdhsa_user_sgpr_dispatch_id 0
		.amdhsa_user_sgpr_kernarg_preload_length 0
		.amdhsa_user_sgpr_kernarg_preload_offset 0
		.amdhsa_user_sgpr_private_segment_size 0
		.amdhsa_wavefront_size32 1
		.amdhsa_uses_dynamic_stack 0
		.amdhsa_enable_private_segment 0
		.amdhsa_system_sgpr_workgroup_id_x 1
		.amdhsa_system_sgpr_workgroup_id_y 0
		.amdhsa_system_sgpr_workgroup_id_z 0
		.amdhsa_system_sgpr_workgroup_info 0
		.amdhsa_system_vgpr_workitem_id 0
		.amdhsa_next_free_vgpr 34
		.amdhsa_next_free_sgpr 24
		.amdhsa_named_barrier_count 0
		.amdhsa_reserve_vcc 1
		.amdhsa_float_round_mode_32 0
		.amdhsa_float_round_mode_16_64 0
		.amdhsa_float_denorm_mode_32 3
		.amdhsa_float_denorm_mode_16_64 3
		.amdhsa_fp16_overflow 0
		.amdhsa_memory_ordered 1
		.amdhsa_forward_progress 1
		.amdhsa_inst_pref_size 27
		.amdhsa_round_robin_scheduling 0
		.amdhsa_exception_fp_ieee_invalid_op 0
		.amdhsa_exception_fp_denorm_src 0
		.amdhsa_exception_fp_ieee_div_zero 0
		.amdhsa_exception_fp_ieee_overflow 0
		.amdhsa_exception_fp_ieee_underflow 0
		.amdhsa_exception_fp_ieee_inexact 0
		.amdhsa_exception_int_div_zero 0
	.end_amdhsa_kernel
	.section	.text._Z11fill_kernelI13hipblaslt_bf8Z21hipblaslt_init_deviceIS0_Ev8ABC_dims24hipblaslt_initializationbPT_mmmmmEUlmE3_EvS5_mmT0_,"axG",@progbits,_Z11fill_kernelI13hipblaslt_bf8Z21hipblaslt_init_deviceIS0_Ev8ABC_dims24hipblaslt_initializationbPT_mmmmmEUlmE3_EvS5_mmT0_,comdat
.Lfunc_end81:
	.size	_Z11fill_kernelI13hipblaslt_bf8Z21hipblaslt_init_deviceIS0_Ev8ABC_dims24hipblaslt_initializationbPT_mmmmmEUlmE3_EvS5_mmT0_, .Lfunc_end81-_Z11fill_kernelI13hipblaslt_bf8Z21hipblaslt_init_deviceIS0_Ev8ABC_dims24hipblaslt_initializationbPT_mmmmmEUlmE3_EvS5_mmT0_
                                        ; -- End function
	.set _Z11fill_kernelI13hipblaslt_bf8Z21hipblaslt_init_deviceIS0_Ev8ABC_dims24hipblaslt_initializationbPT_mmmmmEUlmE3_EvS5_mmT0_.num_vgpr, 34
	.set _Z11fill_kernelI13hipblaslt_bf8Z21hipblaslt_init_deviceIS0_Ev8ABC_dims24hipblaslt_initializationbPT_mmmmmEUlmE3_EvS5_mmT0_.num_agpr, 0
	.set _Z11fill_kernelI13hipblaslt_bf8Z21hipblaslt_init_deviceIS0_Ev8ABC_dims24hipblaslt_initializationbPT_mmmmmEUlmE3_EvS5_mmT0_.numbered_sgpr, 24
	.set _Z11fill_kernelI13hipblaslt_bf8Z21hipblaslt_init_deviceIS0_Ev8ABC_dims24hipblaslt_initializationbPT_mmmmmEUlmE3_EvS5_mmT0_.num_named_barrier, 0
	.set _Z11fill_kernelI13hipblaslt_bf8Z21hipblaslt_init_deviceIS0_Ev8ABC_dims24hipblaslt_initializationbPT_mmmmmEUlmE3_EvS5_mmT0_.private_seg_size, 0
	.set _Z11fill_kernelI13hipblaslt_bf8Z21hipblaslt_init_deviceIS0_Ev8ABC_dims24hipblaslt_initializationbPT_mmmmmEUlmE3_EvS5_mmT0_.uses_vcc, 1
	.set _Z11fill_kernelI13hipblaslt_bf8Z21hipblaslt_init_deviceIS0_Ev8ABC_dims24hipblaslt_initializationbPT_mmmmmEUlmE3_EvS5_mmT0_.uses_flat_scratch, 0
	.set _Z11fill_kernelI13hipblaslt_bf8Z21hipblaslt_init_deviceIS0_Ev8ABC_dims24hipblaslt_initializationbPT_mmmmmEUlmE3_EvS5_mmT0_.has_dyn_sized_stack, 0
	.set _Z11fill_kernelI13hipblaslt_bf8Z21hipblaslt_init_deviceIS0_Ev8ABC_dims24hipblaslt_initializationbPT_mmmmmEUlmE3_EvS5_mmT0_.has_recursion, 0
	.set _Z11fill_kernelI13hipblaslt_bf8Z21hipblaslt_init_deviceIS0_Ev8ABC_dims24hipblaslt_initializationbPT_mmmmmEUlmE3_EvS5_mmT0_.has_indirect_call, 0
	.section	.AMDGPU.csdata,"",@progbits
; Kernel info:
; codeLenInByte = 3376
; TotalNumSgprs: 26
; NumVgprs: 34
; ScratchSize: 0
; MemoryBound: 0
; FloatMode: 240
; IeeeMode: 1
; LDSByteSize: 0 bytes/workgroup (compile time only)
; SGPRBlocks: 0
; VGPRBlocks: 2
; NumSGPRsForWavesPerEU: 26
; NumVGPRsForWavesPerEU: 34
; NamedBarCnt: 0
; Occupancy: 16
; WaveLimiterHint : 0
; COMPUTE_PGM_RSRC2:SCRATCH_EN: 0
; COMPUTE_PGM_RSRC2:USER_SGPR: 2
; COMPUTE_PGM_RSRC2:TRAP_HANDLER: 0
; COMPUTE_PGM_RSRC2:TGID_X_EN: 1
; COMPUTE_PGM_RSRC2:TGID_Y_EN: 0
; COMPUTE_PGM_RSRC2:TGID_Z_EN: 0
; COMPUTE_PGM_RSRC2:TIDIG_COMP_CNT: 0
	.section	.text._Z11fill_kernelI13hipblaslt_bf8Z21hipblaslt_init_deviceIS0_Ev8ABC_dims24hipblaslt_initializationbPT_mmmmmEUlmE4_EvS5_mmT0_,"axG",@progbits,_Z11fill_kernelI13hipblaslt_bf8Z21hipblaslt_init_deviceIS0_Ev8ABC_dims24hipblaslt_initializationbPT_mmmmmEUlmE4_EvS5_mmT0_,comdat
	.protected	_Z11fill_kernelI13hipblaslt_bf8Z21hipblaslt_init_deviceIS0_Ev8ABC_dims24hipblaslt_initializationbPT_mmmmmEUlmE4_EvS5_mmT0_ ; -- Begin function _Z11fill_kernelI13hipblaslt_bf8Z21hipblaslt_init_deviceIS0_Ev8ABC_dims24hipblaslt_initializationbPT_mmmmmEUlmE4_EvS5_mmT0_
	.globl	_Z11fill_kernelI13hipblaslt_bf8Z21hipblaslt_init_deviceIS0_Ev8ABC_dims24hipblaslt_initializationbPT_mmmmmEUlmE4_EvS5_mmT0_
	.p2align	8
	.type	_Z11fill_kernelI13hipblaslt_bf8Z21hipblaslt_init_deviceIS0_Ev8ABC_dims24hipblaslt_initializationbPT_mmmmmEUlmE4_EvS5_mmT0_,@function
_Z11fill_kernelI13hipblaslt_bf8Z21hipblaslt_init_deviceIS0_Ev8ABC_dims24hipblaslt_initializationbPT_mmmmmEUlmE4_EvS5_mmT0_: ; @_Z11fill_kernelI13hipblaslt_bf8Z21hipblaslt_init_deviceIS0_Ev8ABC_dims24hipblaslt_initializationbPT_mmmmmEUlmE4_EvS5_mmT0_
; %bb.0:
	s_clause 0x1
	s_load_b32 s2, s[0:1], 0x2c
	s_load_b128 s[4:7], s[0:1], 0x0
	s_bfe_u32 s3, ttmp6, 0x4000c
	s_and_b32 s8, ttmp6, 15
	s_add_co_i32 s3, s3, 1
	s_getreg_b32 s9, hwreg(HW_REG_IB_STS2, 6, 4)
	s_mul_i32 s3, ttmp9, s3
	v_mov_b32_e32 v3, 0
	s_add_co_i32 s8, s8, s3
	s_wait_kmcnt 0x0
	s_and_b32 s2, s2, 0xffff
	s_cmp_eq_u32 s9, 0
	s_cselect_b32 s3, ttmp9, s8
	s_delay_alu instid0(SALU_CYCLE_1) | instskip(SKIP_1) | instid1(VALU_DEP_1)
	v_mad_u32 v2, s3, s2, v0
	s_mov_b32 s2, exec_lo
	v_cmpx_gt_u64_e64 s[6:7], v[2:3]
	s_cbranch_execz .LBB82_24
; %bb.1:
	s_load_b64 s[0:1], s[0:1], 0x10
	s_wait_kmcnt 0x0
	v_add_nc_u64_e32 v[0:1], s[0:1], v[2:3]
	s_mov_b32 s0, 0x19660d
	s_delay_alu instid0(VALU_DEP_1) | instid1(SALU_CYCLE_1)
	v_mad_nc_u64_u32 v[4:5], v0, s0, 0x3c6ef35f
	s_mov_b64 s[0:1], 0x41efffffffe00000
	s_delay_alu instid0(VALU_DEP_1) | instskip(NEXT) | instid1(VALU_DEP_1)
	v_mad_u32 v5, 0x19660d, v1, v5
	v_lshlrev_b64_e32 v[6:7], 13, v[4:5]
	s_delay_alu instid0(VALU_DEP_1) | instskip(NEXT) | instid1(VALU_DEP_2)
	v_xor_b32_e32 v5, v7, v5
	v_xor_b32_e32 v4, v6, v4
	s_delay_alu instid0(VALU_DEP_1) | instskip(NEXT) | instid1(VALU_DEP_1)
	v_lshrrev_b64 v[6:7], 17, v[4:5]
	v_xor_b32_e32 v5, v7, v5
	s_delay_alu instid0(VALU_DEP_2) | instskip(NEXT) | instid1(VALU_DEP_1)
	v_xor_b32_e32 v4, v6, v4
	v_lshlrev_b64_e32 v[6:7], 5, v[4:5]
	s_delay_alu instid0(VALU_DEP_1) | instskip(NEXT) | instid1(VALU_DEP_2)
	v_xor_b32_e32 v5, v7, v5
	v_xor_b32_e32 v4, v6, v4
	s_delay_alu instid0(VALU_DEP_1) | instskip(NEXT) | instid1(VALU_DEP_1)
	v_lshlrev_b64_e32 v[6:7], 13, v[4:5]
	v_xor_b32_e32 v5, v7, v5
	s_delay_alu instid0(VALU_DEP_2) | instskip(NEXT) | instid1(VALU_DEP_1)
	v_xor_b32_e32 v4, v6, v4
	v_lshrrev_b64 v[6:7], 17, v[4:5]
	s_delay_alu instid0(VALU_DEP_1) | instskip(NEXT) | instid1(VALU_DEP_2)
	v_xor_b32_e32 v5, v7, v5
	v_xor_b32_e32 v4, v6, v4
	s_delay_alu instid0(VALU_DEP_1) | instskip(NEXT) | instid1(VALU_DEP_1)
	v_lshlrev_b64_e32 v[6:7], 5, v[4:5]
	v_xor_b32_e32 v5, v7, v5
	s_delay_alu instid0(VALU_DEP_2) | instskip(NEXT) | instid1(VALU_DEP_1)
	v_xor_b32_e32 v4, v6, v4
	v_lshlrev_b64_e32 v[6:7], 13, v[4:5]
	s_delay_alu instid0(VALU_DEP_1) | instskip(NEXT) | instid1(VALU_DEP_2)
	v_xor_b32_e32 v2, v7, v5
	v_xor_b32_e32 v4, v6, v4
	s_delay_alu instid0(VALU_DEP_1) | instskip(NEXT) | instid1(VALU_DEP_1)
	v_alignbit_b32 v2, v2, v4, 17
	v_xor_b32_e32 v2, v2, v4
	s_delay_alu instid0(VALU_DEP_1) | instskip(NEXT) | instid1(VALU_DEP_1)
	v_lshlrev_b32_e32 v4, 5, v2
	v_xor_b32_e32 v2, v4, v2
	s_delay_alu instid0(VALU_DEP_1) | instskip(NEXT) | instid1(VALU_DEP_1)
	v_cvt_f64_u32_e32 v[4:5], v2
	v_div_scale_f64 v[6:7], null, s[0:1], s[0:1], v[4:5]
	v_div_scale_f64 v[12:13], vcc_lo, v[4:5], s[0:1], v[4:5]
	s_delay_alu instid0(VALU_DEP_2) | instskip(SKIP_1) | instid1(TRANS32_DEP_1)
	v_rcp_f64_e32 v[8:9], v[6:7]
	v_nop
	v_fma_f64 v[10:11], -v[6:7], v[8:9], 1.0
	s_delay_alu instid0(VALU_DEP_1) | instskip(NEXT) | instid1(VALU_DEP_1)
	v_fmac_f64_e32 v[8:9], v[8:9], v[10:11]
	v_fma_f64 v[10:11], -v[6:7], v[8:9], 1.0
	s_delay_alu instid0(VALU_DEP_1) | instskip(NEXT) | instid1(VALU_DEP_1)
	v_fmac_f64_e32 v[8:9], v[8:9], v[10:11]
	v_mul_f64_e32 v[10:11], v[12:13], v[8:9]
	s_delay_alu instid0(VALU_DEP_1) | instskip(NEXT) | instid1(VALU_DEP_1)
	v_fma_f64 v[6:7], -v[6:7], v[10:11], v[12:13]
	v_div_fmas_f64 v[6:7], v[6:7], v[8:9], v[10:11]
	s_delay_alu instid0(VALU_DEP_1) | instskip(SKIP_2) | instid1(VALU_DEP_2)
	v_div_fixup_f64 v[4:5], v[6:7], s[0:1], v[4:5]
	v_mov_b32_e32 v6, v3
	s_mov_b64 s[0:1], 0x7ff0000000000000
	v_add_f64_e32 v[4:5], -0.5, v[4:5]
	s_delay_alu instid0(VALU_DEP_1) | instskip(SKIP_1) | instid1(VALU_DEP_3)
	v_and_b32_e32 v7, 0x7ff00000, v5
	v_and_b32_e32 v3, 0xfffff, v5
	v_mov_b32_e32 v2, v4
	s_delay_alu instid0(VALU_DEP_3) | instskip(SKIP_1) | instid1(SALU_CYCLE_1)
	v_cmp_ne_u64_e32 vcc_lo, s[0:1], v[6:7]
                                        ; implicit-def: $vgpr7
	s_and_saveexec_b32 s0, vcc_lo
	s_xor_b32 s2, exec_lo, s0
	s_cbranch_execz .LBB82_17
; %bb.2:
	v_and_b32_e32 v7, 0x7fffffff, v5
	v_dual_mov_b32 v6, v4 :: v_dual_lshrrev_b32 v8, 24, v5
	s_mov_b64 s[0:1], 0x40ec000000000001
	s_delay_alu instid0(VALU_DEP_1) | instid1(SALU_CYCLE_1)
	v_cmp_gt_u64_e32 vcc_lo, s[0:1], v[6:7]
	s_delay_alu instid0(VALU_DEP_2) | instskip(SKIP_1) | instid1(SALU_CYCLE_1)
	v_and_b32_e32 v6, 0x80, v8
                                        ; implicit-def: $vgpr7
	s_and_saveexec_b32 s0, vcc_lo
	s_xor_b32 s3, exec_lo, s0
	s_cbranch_execz .LBB82_14
; %bb.3:
	v_mov_b32_e32 v7, 0
	s_mov_b32 s6, exec_lo
	v_cmpx_ne_u64_e32 0, v[4:5]
	s_cbranch_execz .LBB82_13
; %bb.4:
	v_bfe_u32 v7, v5, 20, 11
	v_or_b32_e32 v5, 0x100000, v3
	s_mov_b32 s7, 0
	s_delay_alu instid0(VALU_DEP_2) | instskip(SKIP_1) | instid1(VALU_DEP_2)
	v_sub_nc_u32_e64 v4, 0x3f1, v7 clamp
	v_cmp_eq_u32_e32 vcc_lo, 0, v7
	v_cndmask_b32_e64 v14, v4, 0x3f0, vcc_lo
	s_delay_alu instid0(VALU_DEP_1) | instskip(SKIP_1) | instid1(VALU_DEP_2)
	v_dual_cndmask_b32 v3, v5, v3 :: v_dual_add_nc_u32 v4, 50, v14
	v_add_nc_u32_e32 v5, 49, v14
	v_lshrrev_b64 v[10:11], v14, v[2:3]
	s_delay_alu instid0(VALU_DEP_3) | instskip(SKIP_1) | instid1(VALU_DEP_4)
	v_lshlrev_b64_e64 v[8:9], v4, -1
	v_mov_b32_e32 v4, 0
	v_lshlrev_b64_e64 v[12:13], v5, 1
	s_delay_alu instid0(VALU_DEP_4) | instskip(NEXT) | instid1(VALU_DEP_4)
	v_and_b32_e32 v5, 0x40000, v11
	v_bfi_b32 v3, v9, 0, v3
	v_bfi_b32 v2, v8, 0, v2
	s_delay_alu instid0(VALU_DEP_3) | instskip(SKIP_2) | instid1(VALU_DEP_4)
	v_cmp_eq_u64_e64 s0, 0, v[4:5]
	v_add_nc_u32_e32 v5, 0xfffffc10, v7
	v_lshrrev_b32_e32 v7, 20, v11
	v_cmp_eq_u64_e64 s1, v[2:3], v[12:13]
	v_mov_b32_e32 v3, s7
	s_delay_alu instid0(VALU_DEP_4) | instskip(NEXT) | instid1(VALU_DEP_1)
	v_cndmask_b32_e64 v5, v5, 0xfffffc11, vcc_lo
	v_add3_u32 v7, v5, v14, v7
	s_and_b32 s0, s0, s1
                                        ; implicit-def: $vgpr5
	s_delay_alu instid0(SALU_CYCLE_1) | instskip(SKIP_1) | instid1(VALU_DEP_2)
	v_cndmask_b32_e64 v2, 0, 1, s0
	s_mov_b32 s0, exec_lo
	v_add_nc_u32_e32 v8, -1, v7
	s_delay_alu instid0(VALU_DEP_2) | instskip(NEXT) | instid1(VALU_DEP_1)
	v_sub_nc_u64_e32 v[2:3], v[10:11], v[2:3]
	v_and_b32_e32 v3, 0x3ffff, v3
	s_delay_alu instid0(VALU_DEP_1) | instskip(NEXT) | instid1(VALU_DEP_4)
	v_add_nc_u64_e32 v[2:3], v[2:3], v[10:11]
	v_cmpx_ne_u32_e32 0, v8
	s_xor_b32 s0, exec_lo, s0
; %bb.5:
	s_delay_alu instid0(VALU_DEP_2) | instskip(SKIP_1) | instid1(VALU_DEP_2)
	v_and_b32_e32 v5, 0x200000, v3
	v_bfe_u32 v9, v3, 21, 1
	v_cmp_eq_u64_e32 vcc_lo, 0, v[4:5]
	s_delay_alu instid0(VALU_DEP_2)
	v_lshrrev_b64 v[2:3], v9, v[2:3]
	v_cndmask_b32_e32 v5, v7, v8, vcc_lo
; %bb.6:
	s_and_not1_saveexec_b32 s0, s0
; %bb.7:
	s_delay_alu instid0(VALU_DEP_2)
	v_bfe_u32 v5, v3, 20, 1
; %bb.8:
	s_or_b32 exec_lo, exec_lo, s0
	v_dual_mov_b32 v3, 0 :: v_dual_lshrrev_b32 v2, 18, v3
	s_delay_alu instid0(VALU_DEP_2) | instskip(SKIP_1) | instid1(VALU_DEP_3)
	v_cmp_gt_i32_e32 vcc_lo, 32, v5
	v_cmp_ne_u32_e64 s0, 0, v5
                                        ; implicit-def: $vgpr7
	v_cndmask_b32_e32 v2, 3, v2, vcc_lo
	s_delay_alu instid0(VALU_DEP_1) | instskip(SKIP_1) | instid1(SALU_CYCLE_1)
	v_cmp_ne_u64_e32 vcc_lo, 0, v[2:3]
	s_or_b32 s0, s0, vcc_lo
	s_and_saveexec_b32 s1, s0
	s_delay_alu instid0(SALU_CYCLE_1)
	s_xor_b32 s0, exec_lo, s1
; %bb.9:
	v_min_i32_e32 v3, 31, v5
	s_delay_alu instid0(VALU_DEP_1) | instskip(NEXT) | instid1(VALU_DEP_1)
	v_lshl_or_b32 v3, v3, 2, v6
                                        ; implicit-def: $vgpr6
	v_and_or_b32 v7, v2, 3, v3
; %bb.10:
	s_and_not1_saveexec_b32 s0, s0
; %bb.11:
	v_mov_b32_e32 v7, v6
; %bb.12:
	s_or_b32 exec_lo, exec_lo, s0
.LBB82_13:
	s_delay_alu instid0(SALU_CYCLE_1)
	s_or_b32 exec_lo, exec_lo, s6
                                        ; implicit-def: $vgpr6
.LBB82_14:
	s_and_not1_saveexec_b32 s0, s3
; %bb.15:
	v_or_b32_e32 v7, 0x7b, v6
; %bb.16:
	s_or_b32 exec_lo, exec_lo, s0
                                        ; implicit-def: $vgpr4_vgpr5
                                        ; implicit-def: $vgpr2_vgpr3
.LBB82_17:
	s_and_not1_saveexec_b32 s0, s2
	s_cbranch_execz .LBB82_23
; %bb.18:
	s_mov_b32 s1, exec_lo
                                        ; implicit-def: $vgpr7
	v_cmpx_ne_u64_e32 0, v[2:3]
	s_xor_b32 s1, exec_lo, s1
; %bb.19:
	v_lshrrev_b32_e32 v7, 24, v5
                                        ; implicit-def: $vgpr4_vgpr5
; %bb.20:
	s_and_not1_saveexec_b32 s1, s1
; %bb.21:
	v_cmp_lt_i64_e32 vcc_lo, -1, v[4:5]
	v_cndmask_b32_e64 v7, -4, 0x7c, vcc_lo
; %bb.22:
	s_or_b32 exec_lo, exec_lo, s1
.LBB82_23:
	s_delay_alu instid0(SALU_CYCLE_1)
	s_or_b32 exec_lo, exec_lo, s0
	v_add_nc_u64_e32 v[0:1], s[4:5], v[0:1]
	global_store_b8 v[0:1], v7, off
.LBB82_24:
	s_endpgm
	.section	.rodata,"a",@progbits
	.p2align	6, 0x0
	.amdhsa_kernel _Z11fill_kernelI13hipblaslt_bf8Z21hipblaslt_init_deviceIS0_Ev8ABC_dims24hipblaslt_initializationbPT_mmmmmEUlmE4_EvS5_mmT0_
		.amdhsa_group_segment_fixed_size 0
		.amdhsa_private_segment_fixed_size 0
		.amdhsa_kernarg_size 288
		.amdhsa_user_sgpr_count 2
		.amdhsa_user_sgpr_dispatch_ptr 0
		.amdhsa_user_sgpr_queue_ptr 0
		.amdhsa_user_sgpr_kernarg_segment_ptr 1
		.amdhsa_user_sgpr_dispatch_id 0
		.amdhsa_user_sgpr_kernarg_preload_length 0
		.amdhsa_user_sgpr_kernarg_preload_offset 0
		.amdhsa_user_sgpr_private_segment_size 0
		.amdhsa_wavefront_size32 1
		.amdhsa_uses_dynamic_stack 0
		.amdhsa_enable_private_segment 0
		.amdhsa_system_sgpr_workgroup_id_x 1
		.amdhsa_system_sgpr_workgroup_id_y 0
		.amdhsa_system_sgpr_workgroup_id_z 0
		.amdhsa_system_sgpr_workgroup_info 0
		.amdhsa_system_vgpr_workitem_id 0
		.amdhsa_next_free_vgpr 15
		.amdhsa_next_free_sgpr 10
		.amdhsa_named_barrier_count 0
		.amdhsa_reserve_vcc 1
		.amdhsa_float_round_mode_32 0
		.amdhsa_float_round_mode_16_64 0
		.amdhsa_float_denorm_mode_32 3
		.amdhsa_float_denorm_mode_16_64 3
		.amdhsa_fp16_overflow 0
		.amdhsa_memory_ordered 1
		.amdhsa_forward_progress 1
		.amdhsa_inst_pref_size 9
		.amdhsa_round_robin_scheduling 0
		.amdhsa_exception_fp_ieee_invalid_op 0
		.amdhsa_exception_fp_denorm_src 0
		.amdhsa_exception_fp_ieee_div_zero 0
		.amdhsa_exception_fp_ieee_overflow 0
		.amdhsa_exception_fp_ieee_underflow 0
		.amdhsa_exception_fp_ieee_inexact 0
		.amdhsa_exception_int_div_zero 0
	.end_amdhsa_kernel
	.section	.text._Z11fill_kernelI13hipblaslt_bf8Z21hipblaslt_init_deviceIS0_Ev8ABC_dims24hipblaslt_initializationbPT_mmmmmEUlmE4_EvS5_mmT0_,"axG",@progbits,_Z11fill_kernelI13hipblaslt_bf8Z21hipblaslt_init_deviceIS0_Ev8ABC_dims24hipblaslt_initializationbPT_mmmmmEUlmE4_EvS5_mmT0_,comdat
.Lfunc_end82:
	.size	_Z11fill_kernelI13hipblaslt_bf8Z21hipblaslt_init_deviceIS0_Ev8ABC_dims24hipblaslt_initializationbPT_mmmmmEUlmE4_EvS5_mmT0_, .Lfunc_end82-_Z11fill_kernelI13hipblaslt_bf8Z21hipblaslt_init_deviceIS0_Ev8ABC_dims24hipblaslt_initializationbPT_mmmmmEUlmE4_EvS5_mmT0_
                                        ; -- End function
	.set _Z11fill_kernelI13hipblaslt_bf8Z21hipblaslt_init_deviceIS0_Ev8ABC_dims24hipblaslt_initializationbPT_mmmmmEUlmE4_EvS5_mmT0_.num_vgpr, 15
	.set _Z11fill_kernelI13hipblaslt_bf8Z21hipblaslt_init_deviceIS0_Ev8ABC_dims24hipblaslt_initializationbPT_mmmmmEUlmE4_EvS5_mmT0_.num_agpr, 0
	.set _Z11fill_kernelI13hipblaslt_bf8Z21hipblaslt_init_deviceIS0_Ev8ABC_dims24hipblaslt_initializationbPT_mmmmmEUlmE4_EvS5_mmT0_.numbered_sgpr, 10
	.set _Z11fill_kernelI13hipblaslt_bf8Z21hipblaslt_init_deviceIS0_Ev8ABC_dims24hipblaslt_initializationbPT_mmmmmEUlmE4_EvS5_mmT0_.num_named_barrier, 0
	.set _Z11fill_kernelI13hipblaslt_bf8Z21hipblaslt_init_deviceIS0_Ev8ABC_dims24hipblaslt_initializationbPT_mmmmmEUlmE4_EvS5_mmT0_.private_seg_size, 0
	.set _Z11fill_kernelI13hipblaslt_bf8Z21hipblaslt_init_deviceIS0_Ev8ABC_dims24hipblaslt_initializationbPT_mmmmmEUlmE4_EvS5_mmT0_.uses_vcc, 1
	.set _Z11fill_kernelI13hipblaslt_bf8Z21hipblaslt_init_deviceIS0_Ev8ABC_dims24hipblaslt_initializationbPT_mmmmmEUlmE4_EvS5_mmT0_.uses_flat_scratch, 0
	.set _Z11fill_kernelI13hipblaslt_bf8Z21hipblaslt_init_deviceIS0_Ev8ABC_dims24hipblaslt_initializationbPT_mmmmmEUlmE4_EvS5_mmT0_.has_dyn_sized_stack, 0
	.set _Z11fill_kernelI13hipblaslt_bf8Z21hipblaslt_init_deviceIS0_Ev8ABC_dims24hipblaslt_initializationbPT_mmmmmEUlmE4_EvS5_mmT0_.has_recursion, 0
	.set _Z11fill_kernelI13hipblaslt_bf8Z21hipblaslt_init_deviceIS0_Ev8ABC_dims24hipblaslt_initializationbPT_mmmmmEUlmE4_EvS5_mmT0_.has_indirect_call, 0
	.section	.AMDGPU.csdata,"",@progbits
; Kernel info:
; codeLenInByte = 1068
; TotalNumSgprs: 12
; NumVgprs: 15
; ScratchSize: 0
; MemoryBound: 0
; FloatMode: 240
; IeeeMode: 1
; LDSByteSize: 0 bytes/workgroup (compile time only)
; SGPRBlocks: 0
; VGPRBlocks: 0
; NumSGPRsForWavesPerEU: 12
; NumVGPRsForWavesPerEU: 15
; NamedBarCnt: 0
; Occupancy: 16
; WaveLimiterHint : 0
; COMPUTE_PGM_RSRC2:SCRATCH_EN: 0
; COMPUTE_PGM_RSRC2:USER_SGPR: 2
; COMPUTE_PGM_RSRC2:TRAP_HANDLER: 0
; COMPUTE_PGM_RSRC2:TGID_X_EN: 1
; COMPUTE_PGM_RSRC2:TGID_Y_EN: 0
; COMPUTE_PGM_RSRC2:TGID_Z_EN: 0
; COMPUTE_PGM_RSRC2:TIDIG_COMP_CNT: 0
	.section	.text._Z11fill_kernelI13hipblaslt_bf8Z21hipblaslt_init_deviceIS0_Ev8ABC_dims24hipblaslt_initializationbPT_mmmmmEUlmE5_EvS5_mmT0_,"axG",@progbits,_Z11fill_kernelI13hipblaslt_bf8Z21hipblaslt_init_deviceIS0_Ev8ABC_dims24hipblaslt_initializationbPT_mmmmmEUlmE5_EvS5_mmT0_,comdat
	.protected	_Z11fill_kernelI13hipblaslt_bf8Z21hipblaslt_init_deviceIS0_Ev8ABC_dims24hipblaslt_initializationbPT_mmmmmEUlmE5_EvS5_mmT0_ ; -- Begin function _Z11fill_kernelI13hipblaslt_bf8Z21hipblaslt_init_deviceIS0_Ev8ABC_dims24hipblaslt_initializationbPT_mmmmmEUlmE5_EvS5_mmT0_
	.globl	_Z11fill_kernelI13hipblaslt_bf8Z21hipblaslt_init_deviceIS0_Ev8ABC_dims24hipblaslt_initializationbPT_mmmmmEUlmE5_EvS5_mmT0_
	.p2align	8
	.type	_Z11fill_kernelI13hipblaslt_bf8Z21hipblaslt_init_deviceIS0_Ev8ABC_dims24hipblaslt_initializationbPT_mmmmmEUlmE5_EvS5_mmT0_,@function
_Z11fill_kernelI13hipblaslt_bf8Z21hipblaslt_init_deviceIS0_Ev8ABC_dims24hipblaslt_initializationbPT_mmmmmEUlmE5_EvS5_mmT0_: ; @_Z11fill_kernelI13hipblaslt_bf8Z21hipblaslt_init_deviceIS0_Ev8ABC_dims24hipblaslt_initializationbPT_mmmmmEUlmE5_EvS5_mmT0_
; %bb.0:
	s_clause 0x1
	s_load_b32 s2, s[0:1], 0x2c
	s_load_b128 s[4:7], s[0:1], 0x0
	s_bfe_u32 s3, ttmp6, 0x4000c
	s_and_b32 s8, ttmp6, 15
	s_add_co_i32 s3, s3, 1
	s_getreg_b32 s9, hwreg(HW_REG_IB_STS2, 6, 4)
	s_mul_i32 s3, ttmp9, s3
	v_mov_b32_e32 v1, 0
	s_add_co_i32 s8, s8, s3
	s_wait_kmcnt 0x0
	s_and_b32 s2, s2, 0xffff
	s_cmp_eq_u32 s9, 0
	s_cselect_b32 s3, ttmp9, s8
	s_delay_alu instid0(SALU_CYCLE_1) | instskip(SKIP_1) | instid1(VALU_DEP_1)
	v_mad_u32 v0, s3, s2, v0
	s_mov_b32 s2, exec_lo
	v_cmpx_gt_u64_e64 s[6:7], v[0:1]
	s_cbranch_execz .LBB83_2
; %bb.1:
	s_load_b64 s[0:1], s[0:1], 0x10
	v_mov_b32_e32 v2, 0x7b
	s_wait_kmcnt 0x0
	s_add_nc_u64 s[0:1], s[4:5], s[0:1]
	s_delay_alu instid0(SALU_CYCLE_1)
	v_add_nc_u64_e32 v[0:1], s[0:1], v[0:1]
	global_store_b8 v[0:1], v2, off
.LBB83_2:
	s_endpgm
	.section	.rodata,"a",@progbits
	.p2align	6, 0x0
	.amdhsa_kernel _Z11fill_kernelI13hipblaslt_bf8Z21hipblaslt_init_deviceIS0_Ev8ABC_dims24hipblaslt_initializationbPT_mmmmmEUlmE5_EvS5_mmT0_
		.amdhsa_group_segment_fixed_size 0
		.amdhsa_private_segment_fixed_size 0
		.amdhsa_kernarg_size 288
		.amdhsa_user_sgpr_count 2
		.amdhsa_user_sgpr_dispatch_ptr 0
		.amdhsa_user_sgpr_queue_ptr 0
		.amdhsa_user_sgpr_kernarg_segment_ptr 1
		.amdhsa_user_sgpr_dispatch_id 0
		.amdhsa_user_sgpr_kernarg_preload_length 0
		.amdhsa_user_sgpr_kernarg_preload_offset 0
		.amdhsa_user_sgpr_private_segment_size 0
		.amdhsa_wavefront_size32 1
		.amdhsa_uses_dynamic_stack 0
		.amdhsa_enable_private_segment 0
		.amdhsa_system_sgpr_workgroup_id_x 1
		.amdhsa_system_sgpr_workgroup_id_y 0
		.amdhsa_system_sgpr_workgroup_id_z 0
		.amdhsa_system_sgpr_workgroup_info 0
		.amdhsa_system_vgpr_workitem_id 0
		.amdhsa_next_free_vgpr 3
		.amdhsa_next_free_sgpr 10
		.amdhsa_named_barrier_count 0
		.amdhsa_reserve_vcc 0
		.amdhsa_float_round_mode_32 0
		.amdhsa_float_round_mode_16_64 0
		.amdhsa_float_denorm_mode_32 3
		.amdhsa_float_denorm_mode_16_64 3
		.amdhsa_fp16_overflow 0
		.amdhsa_memory_ordered 1
		.amdhsa_forward_progress 1
		.amdhsa_inst_pref_size 2
		.amdhsa_round_robin_scheduling 0
		.amdhsa_exception_fp_ieee_invalid_op 0
		.amdhsa_exception_fp_denorm_src 0
		.amdhsa_exception_fp_ieee_div_zero 0
		.amdhsa_exception_fp_ieee_overflow 0
		.amdhsa_exception_fp_ieee_underflow 0
		.amdhsa_exception_fp_ieee_inexact 0
		.amdhsa_exception_int_div_zero 0
	.end_amdhsa_kernel
	.section	.text._Z11fill_kernelI13hipblaslt_bf8Z21hipblaslt_init_deviceIS0_Ev8ABC_dims24hipblaslt_initializationbPT_mmmmmEUlmE5_EvS5_mmT0_,"axG",@progbits,_Z11fill_kernelI13hipblaslt_bf8Z21hipblaslt_init_deviceIS0_Ev8ABC_dims24hipblaslt_initializationbPT_mmmmmEUlmE5_EvS5_mmT0_,comdat
.Lfunc_end83:
	.size	_Z11fill_kernelI13hipblaslt_bf8Z21hipblaslt_init_deviceIS0_Ev8ABC_dims24hipblaslt_initializationbPT_mmmmmEUlmE5_EvS5_mmT0_, .Lfunc_end83-_Z11fill_kernelI13hipblaslt_bf8Z21hipblaslt_init_deviceIS0_Ev8ABC_dims24hipblaslt_initializationbPT_mmmmmEUlmE5_EvS5_mmT0_
                                        ; -- End function
	.set _Z11fill_kernelI13hipblaslt_bf8Z21hipblaslt_init_deviceIS0_Ev8ABC_dims24hipblaslt_initializationbPT_mmmmmEUlmE5_EvS5_mmT0_.num_vgpr, 3
	.set _Z11fill_kernelI13hipblaslt_bf8Z21hipblaslt_init_deviceIS0_Ev8ABC_dims24hipblaslt_initializationbPT_mmmmmEUlmE5_EvS5_mmT0_.num_agpr, 0
	.set _Z11fill_kernelI13hipblaslt_bf8Z21hipblaslt_init_deviceIS0_Ev8ABC_dims24hipblaslt_initializationbPT_mmmmmEUlmE5_EvS5_mmT0_.numbered_sgpr, 10
	.set _Z11fill_kernelI13hipblaslt_bf8Z21hipblaslt_init_deviceIS0_Ev8ABC_dims24hipblaslt_initializationbPT_mmmmmEUlmE5_EvS5_mmT0_.num_named_barrier, 0
	.set _Z11fill_kernelI13hipblaslt_bf8Z21hipblaslt_init_deviceIS0_Ev8ABC_dims24hipblaslt_initializationbPT_mmmmmEUlmE5_EvS5_mmT0_.private_seg_size, 0
	.set _Z11fill_kernelI13hipblaslt_bf8Z21hipblaslt_init_deviceIS0_Ev8ABC_dims24hipblaslt_initializationbPT_mmmmmEUlmE5_EvS5_mmT0_.uses_vcc, 0
	.set _Z11fill_kernelI13hipblaslt_bf8Z21hipblaslt_init_deviceIS0_Ev8ABC_dims24hipblaslt_initializationbPT_mmmmmEUlmE5_EvS5_mmT0_.uses_flat_scratch, 0
	.set _Z11fill_kernelI13hipblaslt_bf8Z21hipblaslt_init_deviceIS0_Ev8ABC_dims24hipblaslt_initializationbPT_mmmmmEUlmE5_EvS5_mmT0_.has_dyn_sized_stack, 0
	.set _Z11fill_kernelI13hipblaslt_bf8Z21hipblaslt_init_deviceIS0_Ev8ABC_dims24hipblaslt_initializationbPT_mmmmmEUlmE5_EvS5_mmT0_.has_recursion, 0
	.set _Z11fill_kernelI13hipblaslt_bf8Z21hipblaslt_init_deviceIS0_Ev8ABC_dims24hipblaslt_initializationbPT_mmmmmEUlmE5_EvS5_mmT0_.has_indirect_call, 0
	.section	.AMDGPU.csdata,"",@progbits
; Kernel info:
; codeLenInByte = 148
; TotalNumSgprs: 10
; NumVgprs: 3
; ScratchSize: 0
; MemoryBound: 0
; FloatMode: 240
; IeeeMode: 1
; LDSByteSize: 0 bytes/workgroup (compile time only)
; SGPRBlocks: 0
; VGPRBlocks: 0
; NumSGPRsForWavesPerEU: 10
; NumVGPRsForWavesPerEU: 3
; NamedBarCnt: 0
; Occupancy: 16
; WaveLimiterHint : 0
; COMPUTE_PGM_RSRC2:SCRATCH_EN: 0
; COMPUTE_PGM_RSRC2:USER_SGPR: 2
; COMPUTE_PGM_RSRC2:TRAP_HANDLER: 0
; COMPUTE_PGM_RSRC2:TGID_X_EN: 1
; COMPUTE_PGM_RSRC2:TGID_Y_EN: 0
; COMPUTE_PGM_RSRC2:TGID_Z_EN: 0
; COMPUTE_PGM_RSRC2:TIDIG_COMP_CNT: 0
	.section	.text._Z11fill_kernelI13hipblaslt_bf8Z21hipblaslt_init_deviceIS0_Ev8ABC_dims24hipblaslt_initializationbPT_mmmmmEUlmE6_EvS5_mmT0_,"axG",@progbits,_Z11fill_kernelI13hipblaslt_bf8Z21hipblaslt_init_deviceIS0_Ev8ABC_dims24hipblaslt_initializationbPT_mmmmmEUlmE6_EvS5_mmT0_,comdat
	.protected	_Z11fill_kernelI13hipblaslt_bf8Z21hipblaslt_init_deviceIS0_Ev8ABC_dims24hipblaslt_initializationbPT_mmmmmEUlmE6_EvS5_mmT0_ ; -- Begin function _Z11fill_kernelI13hipblaslt_bf8Z21hipblaslt_init_deviceIS0_Ev8ABC_dims24hipblaslt_initializationbPT_mmmmmEUlmE6_EvS5_mmT0_
	.globl	_Z11fill_kernelI13hipblaslt_bf8Z21hipblaslt_init_deviceIS0_Ev8ABC_dims24hipblaslt_initializationbPT_mmmmmEUlmE6_EvS5_mmT0_
	.p2align	8
	.type	_Z11fill_kernelI13hipblaslt_bf8Z21hipblaslt_init_deviceIS0_Ev8ABC_dims24hipblaslt_initializationbPT_mmmmmEUlmE6_EvS5_mmT0_,@function
_Z11fill_kernelI13hipblaslt_bf8Z21hipblaslt_init_deviceIS0_Ev8ABC_dims24hipblaslt_initializationbPT_mmmmmEUlmE6_EvS5_mmT0_: ; @_Z11fill_kernelI13hipblaslt_bf8Z21hipblaslt_init_deviceIS0_Ev8ABC_dims24hipblaslt_initializationbPT_mmmmmEUlmE6_EvS5_mmT0_
; %bb.0:
	s_clause 0x1
	s_load_b32 s2, s[0:1], 0x2c
	s_load_b128 s[4:7], s[0:1], 0x0
	s_bfe_u32 s3, ttmp6, 0x4000c
	s_and_b32 s8, ttmp6, 15
	s_add_co_i32 s3, s3, 1
	s_getreg_b32 s9, hwreg(HW_REG_IB_STS2, 6, 4)
	s_mul_i32 s3, ttmp9, s3
	v_mov_b32_e32 v1, 0
	s_add_co_i32 s8, s8, s3
	s_wait_kmcnt 0x0
	s_and_b32 s2, s2, 0xffff
	s_cmp_eq_u32 s9, 0
	s_cselect_b32 s3, ttmp9, s8
	s_delay_alu instid0(SALU_CYCLE_1) | instskip(SKIP_1) | instid1(VALU_DEP_1)
	v_mad_u32 v0, s3, s2, v0
	s_mov_b32 s2, exec_lo
	v_cmpx_gt_u64_e64 s[6:7], v[0:1]
	s_cbranch_execz .LBB84_2
; %bb.1:
	s_load_b64 s[0:1], s[0:1], 0x10
	v_mov_b32_e32 v2, 4
	s_wait_kmcnt 0x0
	s_add_nc_u64 s[0:1], s[4:5], s[0:1]
	s_delay_alu instid0(SALU_CYCLE_1)
	v_add_nc_u64_e32 v[0:1], s[0:1], v[0:1]
	global_store_b8 v[0:1], v2, off
.LBB84_2:
	s_endpgm
	.section	.rodata,"a",@progbits
	.p2align	6, 0x0
	.amdhsa_kernel _Z11fill_kernelI13hipblaslt_bf8Z21hipblaslt_init_deviceIS0_Ev8ABC_dims24hipblaslt_initializationbPT_mmmmmEUlmE6_EvS5_mmT0_
		.amdhsa_group_segment_fixed_size 0
		.amdhsa_private_segment_fixed_size 0
		.amdhsa_kernarg_size 288
		.amdhsa_user_sgpr_count 2
		.amdhsa_user_sgpr_dispatch_ptr 0
		.amdhsa_user_sgpr_queue_ptr 0
		.amdhsa_user_sgpr_kernarg_segment_ptr 1
		.amdhsa_user_sgpr_dispatch_id 0
		.amdhsa_user_sgpr_kernarg_preload_length 0
		.amdhsa_user_sgpr_kernarg_preload_offset 0
		.amdhsa_user_sgpr_private_segment_size 0
		.amdhsa_wavefront_size32 1
		.amdhsa_uses_dynamic_stack 0
		.amdhsa_enable_private_segment 0
		.amdhsa_system_sgpr_workgroup_id_x 1
		.amdhsa_system_sgpr_workgroup_id_y 0
		.amdhsa_system_sgpr_workgroup_id_z 0
		.amdhsa_system_sgpr_workgroup_info 0
		.amdhsa_system_vgpr_workitem_id 0
		.amdhsa_next_free_vgpr 3
		.amdhsa_next_free_sgpr 10
		.amdhsa_named_barrier_count 0
		.amdhsa_reserve_vcc 0
		.amdhsa_float_round_mode_32 0
		.amdhsa_float_round_mode_16_64 0
		.amdhsa_float_denorm_mode_32 3
		.amdhsa_float_denorm_mode_16_64 3
		.amdhsa_fp16_overflow 0
		.amdhsa_memory_ordered 1
		.amdhsa_forward_progress 1
		.amdhsa_inst_pref_size 2
		.amdhsa_round_robin_scheduling 0
		.amdhsa_exception_fp_ieee_invalid_op 0
		.amdhsa_exception_fp_denorm_src 0
		.amdhsa_exception_fp_ieee_div_zero 0
		.amdhsa_exception_fp_ieee_overflow 0
		.amdhsa_exception_fp_ieee_underflow 0
		.amdhsa_exception_fp_ieee_inexact 0
		.amdhsa_exception_int_div_zero 0
	.end_amdhsa_kernel
	.section	.text._Z11fill_kernelI13hipblaslt_bf8Z21hipblaslt_init_deviceIS0_Ev8ABC_dims24hipblaslt_initializationbPT_mmmmmEUlmE6_EvS5_mmT0_,"axG",@progbits,_Z11fill_kernelI13hipblaslt_bf8Z21hipblaslt_init_deviceIS0_Ev8ABC_dims24hipblaslt_initializationbPT_mmmmmEUlmE6_EvS5_mmT0_,comdat
.Lfunc_end84:
	.size	_Z11fill_kernelI13hipblaslt_bf8Z21hipblaslt_init_deviceIS0_Ev8ABC_dims24hipblaslt_initializationbPT_mmmmmEUlmE6_EvS5_mmT0_, .Lfunc_end84-_Z11fill_kernelI13hipblaslt_bf8Z21hipblaslt_init_deviceIS0_Ev8ABC_dims24hipblaslt_initializationbPT_mmmmmEUlmE6_EvS5_mmT0_
                                        ; -- End function
	.set _Z11fill_kernelI13hipblaslt_bf8Z21hipblaslt_init_deviceIS0_Ev8ABC_dims24hipblaslt_initializationbPT_mmmmmEUlmE6_EvS5_mmT0_.num_vgpr, 3
	.set _Z11fill_kernelI13hipblaslt_bf8Z21hipblaslt_init_deviceIS0_Ev8ABC_dims24hipblaslt_initializationbPT_mmmmmEUlmE6_EvS5_mmT0_.num_agpr, 0
	.set _Z11fill_kernelI13hipblaslt_bf8Z21hipblaslt_init_deviceIS0_Ev8ABC_dims24hipblaslt_initializationbPT_mmmmmEUlmE6_EvS5_mmT0_.numbered_sgpr, 10
	.set _Z11fill_kernelI13hipblaslt_bf8Z21hipblaslt_init_deviceIS0_Ev8ABC_dims24hipblaslt_initializationbPT_mmmmmEUlmE6_EvS5_mmT0_.num_named_barrier, 0
	.set _Z11fill_kernelI13hipblaslt_bf8Z21hipblaslt_init_deviceIS0_Ev8ABC_dims24hipblaslt_initializationbPT_mmmmmEUlmE6_EvS5_mmT0_.private_seg_size, 0
	.set _Z11fill_kernelI13hipblaslt_bf8Z21hipblaslt_init_deviceIS0_Ev8ABC_dims24hipblaslt_initializationbPT_mmmmmEUlmE6_EvS5_mmT0_.uses_vcc, 0
	.set _Z11fill_kernelI13hipblaslt_bf8Z21hipblaslt_init_deviceIS0_Ev8ABC_dims24hipblaslt_initializationbPT_mmmmmEUlmE6_EvS5_mmT0_.uses_flat_scratch, 0
	.set _Z11fill_kernelI13hipblaslt_bf8Z21hipblaslt_init_deviceIS0_Ev8ABC_dims24hipblaslt_initializationbPT_mmmmmEUlmE6_EvS5_mmT0_.has_dyn_sized_stack, 0
	.set _Z11fill_kernelI13hipblaslt_bf8Z21hipblaslt_init_deviceIS0_Ev8ABC_dims24hipblaslt_initializationbPT_mmmmmEUlmE6_EvS5_mmT0_.has_recursion, 0
	.set _Z11fill_kernelI13hipblaslt_bf8Z21hipblaslt_init_deviceIS0_Ev8ABC_dims24hipblaslt_initializationbPT_mmmmmEUlmE6_EvS5_mmT0_.has_indirect_call, 0
	.section	.AMDGPU.csdata,"",@progbits
; Kernel info:
; codeLenInByte = 144
; TotalNumSgprs: 10
; NumVgprs: 3
; ScratchSize: 0
; MemoryBound: 0
; FloatMode: 240
; IeeeMode: 1
; LDSByteSize: 0 bytes/workgroup (compile time only)
; SGPRBlocks: 0
; VGPRBlocks: 0
; NumSGPRsForWavesPerEU: 10
; NumVGPRsForWavesPerEU: 3
; NamedBarCnt: 0
; Occupancy: 16
; WaveLimiterHint : 0
; COMPUTE_PGM_RSRC2:SCRATCH_EN: 0
; COMPUTE_PGM_RSRC2:USER_SGPR: 2
; COMPUTE_PGM_RSRC2:TRAP_HANDLER: 0
; COMPUTE_PGM_RSRC2:TGID_X_EN: 1
; COMPUTE_PGM_RSRC2:TGID_Y_EN: 0
; COMPUTE_PGM_RSRC2:TGID_Z_EN: 0
; COMPUTE_PGM_RSRC2:TIDIG_COMP_CNT: 0
	.section	.text._Z11fill_kernelI13hipblaslt_bf8Z21hipblaslt_init_deviceIS0_Ev8ABC_dims24hipblaslt_initializationbPT_mmmmmEUlmE7_EvS5_mmT0_,"axG",@progbits,_Z11fill_kernelI13hipblaslt_bf8Z21hipblaslt_init_deviceIS0_Ev8ABC_dims24hipblaslt_initializationbPT_mmmmmEUlmE7_EvS5_mmT0_,comdat
	.protected	_Z11fill_kernelI13hipblaslt_bf8Z21hipblaslt_init_deviceIS0_Ev8ABC_dims24hipblaslt_initializationbPT_mmmmmEUlmE7_EvS5_mmT0_ ; -- Begin function _Z11fill_kernelI13hipblaslt_bf8Z21hipblaslt_init_deviceIS0_Ev8ABC_dims24hipblaslt_initializationbPT_mmmmmEUlmE7_EvS5_mmT0_
	.globl	_Z11fill_kernelI13hipblaslt_bf8Z21hipblaslt_init_deviceIS0_Ev8ABC_dims24hipblaslt_initializationbPT_mmmmmEUlmE7_EvS5_mmT0_
	.p2align	8
	.type	_Z11fill_kernelI13hipblaslt_bf8Z21hipblaslt_init_deviceIS0_Ev8ABC_dims24hipblaslt_initializationbPT_mmmmmEUlmE7_EvS5_mmT0_,@function
_Z11fill_kernelI13hipblaslt_bf8Z21hipblaslt_init_deviceIS0_Ev8ABC_dims24hipblaslt_initializationbPT_mmmmmEUlmE7_EvS5_mmT0_: ; @_Z11fill_kernelI13hipblaslt_bf8Z21hipblaslt_init_deviceIS0_Ev8ABC_dims24hipblaslt_initializationbPT_mmmmmEUlmE7_EvS5_mmT0_
; %bb.0:
	s_clause 0x1
	s_load_b32 s2, s[0:1], 0x2c
	s_load_b128 s[4:7], s[0:1], 0x0
	s_bfe_u32 s3, ttmp6, 0x4000c
	s_and_b32 s8, ttmp6, 15
	s_add_co_i32 s3, s3, 1
	s_getreg_b32 s9, hwreg(HW_REG_IB_STS2, 6, 4)
	s_mul_i32 s3, ttmp9, s3
	v_mov_b32_e32 v3, 0
	s_add_co_i32 s8, s8, s3
	s_wait_kmcnt 0x0
	s_and_b32 s2, s2, 0xffff
	s_cmp_eq_u32 s9, 0
	s_cselect_b32 s3, ttmp9, s8
	s_delay_alu instid0(SALU_CYCLE_1) | instskip(SKIP_1) | instid1(VALU_DEP_1)
	v_mad_u32 v2, s3, s2, v0
	s_mov_b32 s2, exec_lo
	v_cmpx_gt_u64_e64 s[6:7], v[2:3]
	s_cbranch_execz .LBB85_12
; %bb.1:
	s_load_b64 s[0:1], s[0:1], 0x10
	s_wait_kmcnt 0x0
	v_add_nc_u64_e32 v[0:1], s[0:1], v[2:3]
	s_mov_b32 s0, 0x19660d
	s_delay_alu instid0(VALU_DEP_1) | instid1(SALU_CYCLE_1)
	v_mad_nc_u64_u32 v[4:5], v0, s0, 0x3c6ef35f
	s_delay_alu instid0(VALU_DEP_1) | instskip(NEXT) | instid1(VALU_DEP_1)
	v_mad_u32 v5, 0x19660d, v1, v5
	v_lshlrev_b64_e32 v[6:7], 13, v[4:5]
	s_delay_alu instid0(VALU_DEP_1) | instskip(NEXT) | instid1(VALU_DEP_2)
	v_xor_b32_e32 v5, v7, v5
	v_xor_b32_e32 v4, v6, v4
	s_delay_alu instid0(VALU_DEP_1) | instskip(NEXT) | instid1(VALU_DEP_1)
	v_lshrrev_b64 v[6:7], 17, v[4:5]
	v_xor_b32_e32 v5, v7, v5
	s_delay_alu instid0(VALU_DEP_2) | instskip(NEXT) | instid1(VALU_DEP_1)
	v_xor_b32_e32 v4, v6, v4
	v_lshlrev_b64_e32 v[6:7], 5, v[4:5]
	s_delay_alu instid0(VALU_DEP_1) | instskip(NEXT) | instid1(VALU_DEP_2)
	v_xor_b32_e32 v5, v7, v5
	v_xor_b32_e32 v4, v6, v4
	s_delay_alu instid0(VALU_DEP_1) | instskip(NEXT) | instid1(VALU_DEP_1)
	v_lshlrev_b64_e32 v[6:7], 13, v[4:5]
	v_xor_b32_e32 v5, v7, v5
	s_delay_alu instid0(VALU_DEP_2) | instskip(NEXT) | instid1(VALU_DEP_1)
	v_xor_b32_e32 v4, v6, v4
	v_lshrrev_b64 v[6:7], 17, v[4:5]
	s_delay_alu instid0(VALU_DEP_1) | instskip(NEXT) | instid1(VALU_DEP_2)
	v_xor_b32_e32 v5, v7, v5
	v_xor_b32_e32 v4, v6, v4
	s_delay_alu instid0(VALU_DEP_1) | instskip(NEXT) | instid1(VALU_DEP_1)
	v_lshlrev_b64_e32 v[6:7], 5, v[4:5]
	v_xor_b32_e32 v5, v7, v5
	s_delay_alu instid0(VALU_DEP_2) | instskip(NEXT) | instid1(VALU_DEP_1)
	v_xor_b32_e32 v4, v6, v4
	v_lshlrev_b64_e32 v[6:7], 13, v[4:5]
	s_delay_alu instid0(VALU_DEP_1) | instskip(NEXT) | instid1(VALU_DEP_2)
	v_xor_b32_e32 v2, v7, v5
	v_xor_b32_e32 v4, v6, v4
	s_delay_alu instid0(VALU_DEP_1) | instskip(NEXT) | instid1(VALU_DEP_1)
	v_alignbit_b32 v2, v2, v4, 17
	v_xor_b32_e32 v2, v2, v4
	s_delay_alu instid0(VALU_DEP_1) | instskip(NEXT) | instid1(VALU_DEP_1)
	v_lshlrev_b32_e32 v4, 5, v2
	v_xor_b32_e32 v2, v4, v2
	s_delay_alu instid0(VALU_DEP_1) | instskip(NEXT) | instid1(VALU_DEP_1)
	v_mul_hi_u32 v4, 0xcccccccd, v2
	v_lshrrev_b32_e32 v4, 3, v4
	s_delay_alu instid0(VALU_DEP_1) | instskip(NEXT) | instid1(VALU_DEP_1)
	v_mul_lo_u32 v4, v4, 10
	v_sub_nc_u32_e32 v2, v2, v4
	s_delay_alu instid0(VALU_DEP_1) | instskip(NEXT) | instid1(VALU_DEP_1)
	v_add_nc_u32_e32 v2, 1, v2
	v_cvt_f32_u32_e32 v5, v2
	s_delay_alu instid0(VALU_DEP_1) | instskip(SKIP_1) | instid1(VALU_DEP_2)
	v_and_b32_e32 v4, 0x7f800000, v5
	v_and_b32_e32 v2, 0x7fffff, v5
	v_cmp_ne_u32_e32 vcc_lo, 0x7f800000, v4
                                        ; implicit-def: $vgpr4
	s_and_saveexec_b32 s0, vcc_lo
	s_delay_alu instid0(SALU_CYCLE_1)
	s_xor_b32 s2, exec_lo, s0
	s_cbranch_execz .LBB85_9
; %bb.2:
	v_mov_b32_e32 v4, 0x7b
	s_mov_b32 s3, exec_lo
	v_cmpx_gt_u32_e32 0x47600001, v5
	s_cbranch_execz .LBB85_8
; %bb.3:
	v_or_b32_e32 v6, 0x800000, v2
	v_cmp_gt_u32_e32 vcc_lo, 0x800000, v5
	s_delay_alu instid0(VALU_DEP_2) | instskip(NEXT) | instid1(VALU_DEP_1)
	v_dual_lshrrev_b32 v12, 23, v5 :: v_dual_cndmask_b32 v2, v6, v2, vcc_lo
	v_sub_nc_u32_e64 v4, 0x71, v12 clamp
	v_mov_b32_e32 v5, 0
	s_delay_alu instid0(VALU_DEP_2) | instskip(NEXT) | instid1(VALU_DEP_1)
	v_cndmask_b32_e64 v13, v4, 0x70, vcc_lo
	v_dual_add_nc_u32 v4, 21, v13 :: v_dual_add_nc_u32 v10, 20, v13
	v_lshrrev_b64 v[8:9], v13, v[2:3]
	s_delay_alu instid0(VALU_DEP_2) | instskip(NEXT) | instid1(VALU_DEP_3)
	v_lshlrev_b64_e64 v[6:7], v4, -1
	v_lshlrev_b64_e64 v[10:11], v10, 1
	s_delay_alu instid0(VALU_DEP_3) | instskip(NEXT) | instid1(VALU_DEP_3)
	v_and_b32_e32 v4, 0x200000, v8
	v_bfi_b32 v3, v7, 0, 0
	s_delay_alu instid0(VALU_DEP_4) | instskip(SKIP_1) | instid1(VALU_DEP_4)
	v_bfi_b32 v2, v6, 0, v2
	v_add_nc_u32_e32 v6, 0xffffff90, v12
	v_cmp_eq_u64_e64 s0, 0, v[4:5]
	s_delay_alu instid0(VALU_DEP_3) | instskip(NEXT) | instid1(VALU_DEP_3)
	v_cmp_eq_u64_e64 s1, v[2:3], v[10:11]
	v_cndmask_b32_e64 v2, v6, 0xffffff91, vcc_lo
	v_lshrrev_b32_e32 v3, 23, v8
	s_delay_alu instid0(VALU_DEP_1) | instskip(SKIP_3) | instid1(VALU_DEP_2)
	v_add3_u32 v3, v2, v13, v3
	s_and_b32 vcc_lo, s0, s1
	s_mov_b32 s0, exec_lo
	v_subrev_co_ci_u32_e64 v4, null, 0, v8, vcc_lo
	v_add_nc_u32_e32 v6, -1, v3
	s_delay_alu instid0(VALU_DEP_2) | instskip(NEXT) | instid1(VALU_DEP_1)
	v_and_b32_e32 v2, 0x1fffff, v4
	v_add_nc_u32_e32 v4, v2, v8
                                        ; implicit-def: $vgpr2
	s_delay_alu instid0(VALU_DEP_3)
	v_cmpx_ne_u32_e32 0, v6
	s_xor_b32 s0, exec_lo, s0
	s_cbranch_execz .LBB85_5
; %bb.4:
	s_delay_alu instid0(VALU_DEP_2) | instskip(SKIP_2) | instid1(VALU_DEP_2)
	v_and_b32_e32 v8, 0x1000000, v4
	v_mov_b32_e32 v9, v5
	v_bfe_u32 v2, v4, 24, 1
	v_cmp_eq_u64_e32 vcc_lo, 0, v[8:9]
	s_delay_alu instid0(VALU_DEP_2)
	v_lshrrev_b64 v[4:5], v2, v[4:5]
	v_cndmask_b32_e32 v2, v3, v6, vcc_lo
.LBB85_5:
	s_and_not1_saveexec_b32 s0, s0
; %bb.6:
	s_delay_alu instid0(VALU_DEP_2)
	v_bfe_u32 v2, v4, 23, 1
; %bb.7:
	s_or_b32 exec_lo, exec_lo, s0
	s_delay_alu instid0(VALU_DEP_3) | instskip(NEXT) | instid1(VALU_DEP_2)
	v_lshrrev_b64 v[4:5], 21, v[4:5]
	v_cmp_gt_i32_e32 vcc_lo, 32, v2
	v_min_i32_e32 v3, 31, v2
	v_cmp_eq_u32_e64 s0, 0, v2
	s_delay_alu instid0(VALU_DEP_4) | instskip(NEXT) | instid1(VALU_DEP_3)
	v_dual_cndmask_b32 v5, 0, v5 :: v_dual_cndmask_b32 v4, 3, v4
	v_lshlrev_b32_e32 v3, 2, v3
	s_delay_alu instid0(VALU_DEP_2) | instskip(NEXT) | instid1(VALU_DEP_2)
	v_cmp_eq_u64_e32 vcc_lo, 0, v[4:5]
	v_and_or_b32 v2, v4, 3, v3
	s_and_b32 s0, s0, vcc_lo
	s_delay_alu instid0(VALU_DEP_1) | instid1(SALU_CYCLE_1)
	v_cndmask_b32_e64 v4, v2, 0, s0
.LBB85_8:
	s_or_b32 exec_lo, exec_lo, s3
                                        ; implicit-def: $vgpr2_vgpr3
.LBB85_9:
	s_and_not1_saveexec_b32 s0, s2
; %bb.10:
	v_cmp_eq_u64_e32 vcc_lo, 0, v[2:3]
	v_mov_b32_e32 v4, 0x7c
	s_delay_alu instid0(VALU_DEP_1)
	v_cndmask_b32_e32 v4, 0x7f, v4, vcc_lo
; %bb.11:
	s_or_b32 exec_lo, exec_lo, s0
	v_add_nc_u64_e32 v[0:1], s[4:5], v[0:1]
	global_store_b8 v[0:1], v4, off
.LBB85_12:
	s_endpgm
	.section	.rodata,"a",@progbits
	.p2align	6, 0x0
	.amdhsa_kernel _Z11fill_kernelI13hipblaslt_bf8Z21hipblaslt_init_deviceIS0_Ev8ABC_dims24hipblaslt_initializationbPT_mmmmmEUlmE7_EvS5_mmT0_
		.amdhsa_group_segment_fixed_size 0
		.amdhsa_private_segment_fixed_size 0
		.amdhsa_kernarg_size 288
		.amdhsa_user_sgpr_count 2
		.amdhsa_user_sgpr_dispatch_ptr 0
		.amdhsa_user_sgpr_queue_ptr 0
		.amdhsa_user_sgpr_kernarg_segment_ptr 1
		.amdhsa_user_sgpr_dispatch_id 0
		.amdhsa_user_sgpr_kernarg_preload_length 0
		.amdhsa_user_sgpr_kernarg_preload_offset 0
		.amdhsa_user_sgpr_private_segment_size 0
		.amdhsa_wavefront_size32 1
		.amdhsa_uses_dynamic_stack 0
		.amdhsa_enable_private_segment 0
		.amdhsa_system_sgpr_workgroup_id_x 1
		.amdhsa_system_sgpr_workgroup_id_y 0
		.amdhsa_system_sgpr_workgroup_id_z 0
		.amdhsa_system_sgpr_workgroup_info 0
		.amdhsa_system_vgpr_workitem_id 0
		.amdhsa_next_free_vgpr 14
		.amdhsa_next_free_sgpr 10
		.amdhsa_named_barrier_count 0
		.amdhsa_reserve_vcc 1
		.amdhsa_float_round_mode_32 0
		.amdhsa_float_round_mode_16_64 0
		.amdhsa_float_denorm_mode_32 3
		.amdhsa_float_denorm_mode_16_64 3
		.amdhsa_fp16_overflow 0
		.amdhsa_memory_ordered 1
		.amdhsa_forward_progress 1
		.amdhsa_inst_pref_size 7
		.amdhsa_round_robin_scheduling 0
		.amdhsa_exception_fp_ieee_invalid_op 0
		.amdhsa_exception_fp_denorm_src 0
		.amdhsa_exception_fp_ieee_div_zero 0
		.amdhsa_exception_fp_ieee_overflow 0
		.amdhsa_exception_fp_ieee_underflow 0
		.amdhsa_exception_fp_ieee_inexact 0
		.amdhsa_exception_int_div_zero 0
	.end_amdhsa_kernel
	.section	.text._Z11fill_kernelI13hipblaslt_bf8Z21hipblaslt_init_deviceIS0_Ev8ABC_dims24hipblaslt_initializationbPT_mmmmmEUlmE7_EvS5_mmT0_,"axG",@progbits,_Z11fill_kernelI13hipblaslt_bf8Z21hipblaslt_init_deviceIS0_Ev8ABC_dims24hipblaslt_initializationbPT_mmmmmEUlmE7_EvS5_mmT0_,comdat
.Lfunc_end85:
	.size	_Z11fill_kernelI13hipblaslt_bf8Z21hipblaslt_init_deviceIS0_Ev8ABC_dims24hipblaslt_initializationbPT_mmmmmEUlmE7_EvS5_mmT0_, .Lfunc_end85-_Z11fill_kernelI13hipblaslt_bf8Z21hipblaslt_init_deviceIS0_Ev8ABC_dims24hipblaslt_initializationbPT_mmmmmEUlmE7_EvS5_mmT0_
                                        ; -- End function
	.set _Z11fill_kernelI13hipblaslt_bf8Z21hipblaslt_init_deviceIS0_Ev8ABC_dims24hipblaslt_initializationbPT_mmmmmEUlmE7_EvS5_mmT0_.num_vgpr, 14
	.set _Z11fill_kernelI13hipblaslt_bf8Z21hipblaslt_init_deviceIS0_Ev8ABC_dims24hipblaslt_initializationbPT_mmmmmEUlmE7_EvS5_mmT0_.num_agpr, 0
	.set _Z11fill_kernelI13hipblaslt_bf8Z21hipblaslt_init_deviceIS0_Ev8ABC_dims24hipblaslt_initializationbPT_mmmmmEUlmE7_EvS5_mmT0_.numbered_sgpr, 10
	.set _Z11fill_kernelI13hipblaslt_bf8Z21hipblaslt_init_deviceIS0_Ev8ABC_dims24hipblaslt_initializationbPT_mmmmmEUlmE7_EvS5_mmT0_.num_named_barrier, 0
	.set _Z11fill_kernelI13hipblaslt_bf8Z21hipblaslt_init_deviceIS0_Ev8ABC_dims24hipblaslt_initializationbPT_mmmmmEUlmE7_EvS5_mmT0_.private_seg_size, 0
	.set _Z11fill_kernelI13hipblaslt_bf8Z21hipblaslt_init_deviceIS0_Ev8ABC_dims24hipblaslt_initializationbPT_mmmmmEUlmE7_EvS5_mmT0_.uses_vcc, 1
	.set _Z11fill_kernelI13hipblaslt_bf8Z21hipblaslt_init_deviceIS0_Ev8ABC_dims24hipblaslt_initializationbPT_mmmmmEUlmE7_EvS5_mmT0_.uses_flat_scratch, 0
	.set _Z11fill_kernelI13hipblaslt_bf8Z21hipblaslt_init_deviceIS0_Ev8ABC_dims24hipblaslt_initializationbPT_mmmmmEUlmE7_EvS5_mmT0_.has_dyn_sized_stack, 0
	.set _Z11fill_kernelI13hipblaslt_bf8Z21hipblaslt_init_deviceIS0_Ev8ABC_dims24hipblaslt_initializationbPT_mmmmmEUlmE7_EvS5_mmT0_.has_recursion, 0
	.set _Z11fill_kernelI13hipblaslt_bf8Z21hipblaslt_init_deviceIS0_Ev8ABC_dims24hipblaslt_initializationbPT_mmmmmEUlmE7_EvS5_mmT0_.has_indirect_call, 0
	.section	.AMDGPU.csdata,"",@progbits
; Kernel info:
; codeLenInByte = 872
; TotalNumSgprs: 12
; NumVgprs: 14
; ScratchSize: 0
; MemoryBound: 0
; FloatMode: 240
; IeeeMode: 1
; LDSByteSize: 0 bytes/workgroup (compile time only)
; SGPRBlocks: 0
; VGPRBlocks: 0
; NumSGPRsForWavesPerEU: 12
; NumVGPRsForWavesPerEU: 14
; NamedBarCnt: 0
; Occupancy: 16
; WaveLimiterHint : 0
; COMPUTE_PGM_RSRC2:SCRATCH_EN: 0
; COMPUTE_PGM_RSRC2:USER_SGPR: 2
; COMPUTE_PGM_RSRC2:TRAP_HANDLER: 0
; COMPUTE_PGM_RSRC2:TGID_X_EN: 1
; COMPUTE_PGM_RSRC2:TGID_Y_EN: 0
; COMPUTE_PGM_RSRC2:TGID_Z_EN: 0
; COMPUTE_PGM_RSRC2:TIDIG_COMP_CNT: 0
	.section	.text._Z11fill_kernelI13hipblaslt_bf8Z21hipblaslt_init_deviceIS0_Ev8ABC_dims24hipblaslt_initializationbPT_mmmmmEUlmE8_EvS5_mmT0_,"axG",@progbits,_Z11fill_kernelI13hipblaslt_bf8Z21hipblaslt_init_deviceIS0_Ev8ABC_dims24hipblaslt_initializationbPT_mmmmmEUlmE8_EvS5_mmT0_,comdat
	.protected	_Z11fill_kernelI13hipblaslt_bf8Z21hipblaslt_init_deviceIS0_Ev8ABC_dims24hipblaslt_initializationbPT_mmmmmEUlmE8_EvS5_mmT0_ ; -- Begin function _Z11fill_kernelI13hipblaslt_bf8Z21hipblaslt_init_deviceIS0_Ev8ABC_dims24hipblaslt_initializationbPT_mmmmmEUlmE8_EvS5_mmT0_
	.globl	_Z11fill_kernelI13hipblaslt_bf8Z21hipblaslt_init_deviceIS0_Ev8ABC_dims24hipblaslt_initializationbPT_mmmmmEUlmE8_EvS5_mmT0_
	.p2align	8
	.type	_Z11fill_kernelI13hipblaslt_bf8Z21hipblaslt_init_deviceIS0_Ev8ABC_dims24hipblaslt_initializationbPT_mmmmmEUlmE8_EvS5_mmT0_,@function
_Z11fill_kernelI13hipblaslt_bf8Z21hipblaslt_init_deviceIS0_Ev8ABC_dims24hipblaslt_initializationbPT_mmmmmEUlmE8_EvS5_mmT0_: ; @_Z11fill_kernelI13hipblaslt_bf8Z21hipblaslt_init_deviceIS0_Ev8ABC_dims24hipblaslt_initializationbPT_mmmmmEUlmE8_EvS5_mmT0_
; %bb.0:
	s_clause 0x1
	s_load_b32 s2, s[0:1], 0x2c
	s_load_b128 s[4:7], s[0:1], 0x0
	s_bfe_u32 s3, ttmp6, 0x4000c
	s_and_b32 s8, ttmp6, 15
	s_add_co_i32 s3, s3, 1
	s_getreg_b32 s9, hwreg(HW_REG_IB_STS2, 6, 4)
	s_mul_i32 s3, ttmp9, s3
	v_mov_b32_e32 v1, 0
	s_add_co_i32 s8, s8, s3
	s_wait_kmcnt 0x0
	s_and_b32 s2, s2, 0xffff
	s_cmp_eq_u32 s9, 0
	s_cselect_b32 s3, ttmp9, s8
	s_delay_alu instid0(SALU_CYCLE_1) | instskip(SKIP_1) | instid1(VALU_DEP_1)
	v_mad_u32 v0, s3, s2, v0
	s_mov_b32 s2, exec_lo
	v_cmpx_gt_u64_e64 s[6:7], v[0:1]
	s_cbranch_execz .LBB86_2
; %bb.1:
	s_load_b64 s[0:1], s[0:1], 0x10
	s_wait_kmcnt 0x0
	s_add_nc_u64 s[0:1], s[4:5], s[0:1]
	s_delay_alu instid0(SALU_CYCLE_1)
	v_add_nc_u64_e32 v[2:3], s[0:1], v[0:1]
	global_store_b8 v[2:3], v1, off
.LBB86_2:
	s_endpgm
	.section	.rodata,"a",@progbits
	.p2align	6, 0x0
	.amdhsa_kernel _Z11fill_kernelI13hipblaslt_bf8Z21hipblaslt_init_deviceIS0_Ev8ABC_dims24hipblaslt_initializationbPT_mmmmmEUlmE8_EvS5_mmT0_
		.amdhsa_group_segment_fixed_size 0
		.amdhsa_private_segment_fixed_size 0
		.amdhsa_kernarg_size 288
		.amdhsa_user_sgpr_count 2
		.amdhsa_user_sgpr_dispatch_ptr 0
		.amdhsa_user_sgpr_queue_ptr 0
		.amdhsa_user_sgpr_kernarg_segment_ptr 1
		.amdhsa_user_sgpr_dispatch_id 0
		.amdhsa_user_sgpr_kernarg_preload_length 0
		.amdhsa_user_sgpr_kernarg_preload_offset 0
		.amdhsa_user_sgpr_private_segment_size 0
		.amdhsa_wavefront_size32 1
		.amdhsa_uses_dynamic_stack 0
		.amdhsa_enable_private_segment 0
		.amdhsa_system_sgpr_workgroup_id_x 1
		.amdhsa_system_sgpr_workgroup_id_y 0
		.amdhsa_system_sgpr_workgroup_id_z 0
		.amdhsa_system_sgpr_workgroup_info 0
		.amdhsa_system_vgpr_workitem_id 0
		.amdhsa_next_free_vgpr 4
		.amdhsa_next_free_sgpr 10
		.amdhsa_named_barrier_count 0
		.amdhsa_reserve_vcc 0
		.amdhsa_float_round_mode_32 0
		.amdhsa_float_round_mode_16_64 0
		.amdhsa_float_denorm_mode_32 3
		.amdhsa_float_denorm_mode_16_64 3
		.amdhsa_fp16_overflow 0
		.amdhsa_memory_ordered 1
		.amdhsa_forward_progress 1
		.amdhsa_inst_pref_size 2
		.amdhsa_round_robin_scheduling 0
		.amdhsa_exception_fp_ieee_invalid_op 0
		.amdhsa_exception_fp_denorm_src 0
		.amdhsa_exception_fp_ieee_div_zero 0
		.amdhsa_exception_fp_ieee_overflow 0
		.amdhsa_exception_fp_ieee_underflow 0
		.amdhsa_exception_fp_ieee_inexact 0
		.amdhsa_exception_int_div_zero 0
	.end_amdhsa_kernel
	.section	.text._Z11fill_kernelI13hipblaslt_bf8Z21hipblaslt_init_deviceIS0_Ev8ABC_dims24hipblaslt_initializationbPT_mmmmmEUlmE8_EvS5_mmT0_,"axG",@progbits,_Z11fill_kernelI13hipblaslt_bf8Z21hipblaslt_init_deviceIS0_Ev8ABC_dims24hipblaslt_initializationbPT_mmmmmEUlmE8_EvS5_mmT0_,comdat
.Lfunc_end86:
	.size	_Z11fill_kernelI13hipblaslt_bf8Z21hipblaslt_init_deviceIS0_Ev8ABC_dims24hipblaslt_initializationbPT_mmmmmEUlmE8_EvS5_mmT0_, .Lfunc_end86-_Z11fill_kernelI13hipblaslt_bf8Z21hipblaslt_init_deviceIS0_Ev8ABC_dims24hipblaslt_initializationbPT_mmmmmEUlmE8_EvS5_mmT0_
                                        ; -- End function
	.set _Z11fill_kernelI13hipblaslt_bf8Z21hipblaslt_init_deviceIS0_Ev8ABC_dims24hipblaslt_initializationbPT_mmmmmEUlmE8_EvS5_mmT0_.num_vgpr, 4
	.set _Z11fill_kernelI13hipblaslt_bf8Z21hipblaslt_init_deviceIS0_Ev8ABC_dims24hipblaslt_initializationbPT_mmmmmEUlmE8_EvS5_mmT0_.num_agpr, 0
	.set _Z11fill_kernelI13hipblaslt_bf8Z21hipblaslt_init_deviceIS0_Ev8ABC_dims24hipblaslt_initializationbPT_mmmmmEUlmE8_EvS5_mmT0_.numbered_sgpr, 10
	.set _Z11fill_kernelI13hipblaslt_bf8Z21hipblaslt_init_deviceIS0_Ev8ABC_dims24hipblaslt_initializationbPT_mmmmmEUlmE8_EvS5_mmT0_.num_named_barrier, 0
	.set _Z11fill_kernelI13hipblaslt_bf8Z21hipblaslt_init_deviceIS0_Ev8ABC_dims24hipblaslt_initializationbPT_mmmmmEUlmE8_EvS5_mmT0_.private_seg_size, 0
	.set _Z11fill_kernelI13hipblaslt_bf8Z21hipblaslt_init_deviceIS0_Ev8ABC_dims24hipblaslt_initializationbPT_mmmmmEUlmE8_EvS5_mmT0_.uses_vcc, 0
	.set _Z11fill_kernelI13hipblaslt_bf8Z21hipblaslt_init_deviceIS0_Ev8ABC_dims24hipblaslt_initializationbPT_mmmmmEUlmE8_EvS5_mmT0_.uses_flat_scratch, 0
	.set _Z11fill_kernelI13hipblaslt_bf8Z21hipblaslt_init_deviceIS0_Ev8ABC_dims24hipblaslt_initializationbPT_mmmmmEUlmE8_EvS5_mmT0_.has_dyn_sized_stack, 0
	.set _Z11fill_kernelI13hipblaslt_bf8Z21hipblaslt_init_deviceIS0_Ev8ABC_dims24hipblaslt_initializationbPT_mmmmmEUlmE8_EvS5_mmT0_.has_recursion, 0
	.set _Z11fill_kernelI13hipblaslt_bf8Z21hipblaslt_init_deviceIS0_Ev8ABC_dims24hipblaslt_initializationbPT_mmmmmEUlmE8_EvS5_mmT0_.has_indirect_call, 0
	.section	.AMDGPU.csdata,"",@progbits
; Kernel info:
; codeLenInByte = 140
; TotalNumSgprs: 10
; NumVgprs: 4
; ScratchSize: 0
; MemoryBound: 0
; FloatMode: 240
; IeeeMode: 1
; LDSByteSize: 0 bytes/workgroup (compile time only)
; SGPRBlocks: 0
; VGPRBlocks: 0
; NumSGPRsForWavesPerEU: 10
; NumVGPRsForWavesPerEU: 4
; NamedBarCnt: 0
; Occupancy: 16
; WaveLimiterHint : 0
; COMPUTE_PGM_RSRC2:SCRATCH_EN: 0
; COMPUTE_PGM_RSRC2:USER_SGPR: 2
; COMPUTE_PGM_RSRC2:TRAP_HANDLER: 0
; COMPUTE_PGM_RSRC2:TGID_X_EN: 1
; COMPUTE_PGM_RSRC2:TGID_Y_EN: 0
; COMPUTE_PGM_RSRC2:TGID_Z_EN: 0
; COMPUTE_PGM_RSRC2:TIDIG_COMP_CNT: 0
	.section	.text._Z11fill_kernelI13hipblaslt_bf8Z21hipblaslt_init_deviceIS0_Ev8ABC_dims24hipblaslt_initializationbPT_mmmmmEUlmE9_EvS5_mmT0_,"axG",@progbits,_Z11fill_kernelI13hipblaslt_bf8Z21hipblaslt_init_deviceIS0_Ev8ABC_dims24hipblaslt_initializationbPT_mmmmmEUlmE9_EvS5_mmT0_,comdat
	.protected	_Z11fill_kernelI13hipblaslt_bf8Z21hipblaslt_init_deviceIS0_Ev8ABC_dims24hipblaslt_initializationbPT_mmmmmEUlmE9_EvS5_mmT0_ ; -- Begin function _Z11fill_kernelI13hipblaslt_bf8Z21hipblaslt_init_deviceIS0_Ev8ABC_dims24hipblaslt_initializationbPT_mmmmmEUlmE9_EvS5_mmT0_
	.globl	_Z11fill_kernelI13hipblaslt_bf8Z21hipblaslt_init_deviceIS0_Ev8ABC_dims24hipblaslt_initializationbPT_mmmmmEUlmE9_EvS5_mmT0_
	.p2align	8
	.type	_Z11fill_kernelI13hipblaslt_bf8Z21hipblaslt_init_deviceIS0_Ev8ABC_dims24hipblaslt_initializationbPT_mmmmmEUlmE9_EvS5_mmT0_,@function
_Z11fill_kernelI13hipblaslt_bf8Z21hipblaslt_init_deviceIS0_Ev8ABC_dims24hipblaslt_initializationbPT_mmmmmEUlmE9_EvS5_mmT0_: ; @_Z11fill_kernelI13hipblaslt_bf8Z21hipblaslt_init_deviceIS0_Ev8ABC_dims24hipblaslt_initializationbPT_mmmmmEUlmE9_EvS5_mmT0_
; %bb.0:
	s_clause 0x1
	s_load_b32 s2, s[0:1], 0x2c
	s_load_b128 s[4:7], s[0:1], 0x0
	s_bfe_u32 s3, ttmp6, 0x4000c
	s_and_b32 s8, ttmp6, 15
	s_add_co_i32 s3, s3, 1
	s_getreg_b32 s9, hwreg(HW_REG_IB_STS2, 6, 4)
	s_mul_i32 s3, ttmp9, s3
	v_mov_b32_e32 v1, 0
	s_add_co_i32 s8, s8, s3
	s_wait_kmcnt 0x0
	s_and_b32 s2, s2, 0xffff
	s_cmp_eq_u32 s9, 0
	s_cselect_b32 s3, ttmp9, s8
	s_delay_alu instid0(SALU_CYCLE_1) | instskip(SKIP_1) | instid1(VALU_DEP_1)
	v_mad_u32 v0, s3, s2, v0
	s_mov_b32 s2, exec_lo
	v_cmpx_gt_u64_e64 s[6:7], v[0:1]
	s_cbranch_execz .LBB87_28
; %bb.1:
	s_load_b96 s[0:2], s[0:1], 0x10
	s_wait_kmcnt 0x0
	v_add_nc_u64_e32 v[0:1], s[0:1], v[0:1]
	s_mov_b32 s0, 0xb90ffb1d
	s_delay_alu instid0(VALU_DEP_1) | instskip(NEXT) | instid1(VALU_DEP_1)
	v_add_nc_u32_e32 v2, s2, v0
	v_mad_u32 v3, v2, s0, 0xdc6d3ef
	s_mov_b32 s0, 0x6ab9d291
	s_delay_alu instid0(VALU_DEP_1) | instskip(SKIP_3) | instid1(VALU_DEP_2)
	v_lshrrev_b32_e32 v5, 2, v3
	v_mad_u32 v4, 0x10dcd, v2, 1
	v_mad_u32 v6, v2, s0, 0xdfb3c992
	s_mov_b32 s0, exec_lo
	v_dual_lshlrev_b32 v7, 4, v4 :: v_dual_bitop2_b32 v3, v5, v3 bitop3:0x14
	s_delay_alu instid0(VALU_DEP_1) | instskip(NEXT) | instid1(VALU_DEP_1)
	v_dual_lshlrev_b32 v5, 1, v3 :: v_dual_lshrrev_b32 v8, 2, v6
	v_xor_b32_e32 v6, v8, v6
	s_delay_alu instid0(VALU_DEP_2) | instskip(NEXT) | instid1(VALU_DEP_1)
	v_xor_b32_e32 v5, v7, v5
	v_xor3_b32 v3, v5, v4, v3
	s_delay_alu instid0(VALU_DEP_1) | instskip(NEXT) | instid1(VALU_DEP_1)
	v_dual_lshlrev_b32 v5, 4, v3 :: v_dual_lshlrev_b32 v4, 1, v6
	v_xor_b32_e32 v5, v4, v5
	v_xor_b32_e32 v4, 0x587c5, v2
	s_delay_alu instid0(VALU_DEP_2) | instskip(NEXT) | instid1(VALU_DEP_1)
	v_xor3_b32 v2, v5, v6, v3
                                        ; implicit-def: $vgpr6
                                        ; implicit-def: $vgpr5
	v_add3_u32 v2, v4, v2, 0xb0f8a
	s_delay_alu instid0(VALU_DEP_1) | instskip(NEXT) | instid1(VALU_DEP_1)
	v_cvt_f32_u32_e32 v2, v2
	v_mul_f32_e32 v2, 0x2f800000, v2
	s_delay_alu instid0(VALU_DEP_1) | instskip(NEXT) | instid1(VALU_DEP_1)
	v_mul_f32_e32 v2, 0x40c90fdb, v2
	v_cmpx_ngt_f32_e32 0x48000000, v2
	s_xor_b32 s2, exec_lo, s0
	s_cbranch_execz .LBB87_3
; %bb.2:
	s_mov_b32 s0, 0x7fffff
	v_mov_b32_e32 v7, 0
	v_and_or_b32 v6, v2, s0, 0x800000
	s_mov_b64 s[0:1], 0xfe5163ab
	v_lshrrev_b32_e32 v5, 23, v2
	s_delay_alu instid0(VALU_DEP_2) | instskip(NEXT) | instid1(VALU_DEP_1)
	v_mul_u64_e32 v[8:9], s[0:1], v[6:7]
	v_dual_mov_b32 v10, v9 :: v_dual_mov_b32 v11, v7
	v_dual_mov_b32 v13, v7 :: v_dual_mov_b32 v15, v7
	;; [unrolled: 1-line block ×3, first 2 shown]
	s_delay_alu instid0(VALU_DEP_3) | instskip(NEXT) | instid1(VALU_DEP_1)
	v_mad_nc_u64_u32 v[10:11], 0x3c439041, v6, v[10:11]
	v_mov_b32_e32 v12, v11
	s_delay_alu instid0(VALU_DEP_1) | instskip(NEXT) | instid1(VALU_DEP_1)
	v_mad_nc_u64_u32 v[12:13], 0xdb629599, v6, v[12:13]
	v_mov_b32_e32 v14, v13
	s_delay_alu instid0(VALU_DEP_1) | instskip(NEXT) | instid1(VALU_DEP_1)
	;; [unrolled: 3-line block ×3, first 2 shown]
	v_mad_nc_u64_u32 v[16:17], 0xfc2757d1, v6, v[16:17]
	v_dual_mov_b32 v19, v7 :: v_dual_mov_b32 v18, v17
	s_delay_alu instid0(VALU_DEP_1) | instskip(NEXT) | instid1(VALU_DEP_1)
	v_mad_nc_u64_u32 v[18:19], 0x4e441529, v6, v[18:19]
	v_dual_mov_b32 v20, v19 :: v_dual_add_nc_u32 v5, 0xffffff88, v5
	s_delay_alu instid0(VALU_DEP_1) | instskip(NEXT) | instid1(VALU_DEP_2)
	v_cmp_lt_u32_e32 vcc_lo, 63, v5
	v_mad_nc_u64_u32 v[6:7], 0xa2f9836e, v6, v[20:21]
	v_cndmask_b32_e64 v9, 0, 0xffffffc0, vcc_lo
	v_dual_cndmask_b32 v11, v18, v14 :: v_dual_cndmask_b32 v8, v12, v8
	s_delay_alu instid0(VALU_DEP_2) | instskip(NEXT) | instid1(VALU_DEP_1)
	v_add_nc_u32_e32 v5, v9, v5
	v_cmp_lt_u32_e64 s0, 31, v5
	v_dual_cndmask_b32 v6, v6, v16 :: v_dual_cndmask_b32 v7, v7, v18
	s_delay_alu instid0(VALU_DEP_2) | instskip(NEXT) | instid1(VALU_DEP_1)
	v_cndmask_b32_e64 v9, 0, 0xffffffe0, s0
	v_add_nc_u32_e32 v5, v9, v5
	s_delay_alu instid0(VALU_DEP_1) | instskip(NEXT) | instid1(VALU_DEP_1)
	v_cmp_lt_u32_e64 s1, 31, v5
	v_cndmask_b32_e64 v9, 0, 0xffffffe0, s1
	s_delay_alu instid0(VALU_DEP_1) | instskip(SKIP_2) | instid1(VALU_DEP_3)
	v_dual_cndmask_b32 v13, v16, v12, vcc_lo :: v_dual_add_nc_u32 v5, v9, v5
	v_cndmask_b32_e32 v9, v14, v10, vcc_lo
	v_dual_cndmask_b32 v10, v6, v11, s0 :: v_dual_cndmask_b32 v6, v7, v6, s0
	v_cndmask_b32_e64 v7, v11, v13, s0
	s_delay_alu instid0(VALU_DEP_4) | instskip(NEXT) | instid1(VALU_DEP_4)
	v_sub_nc_u32_e32 v11, 32, v5
	v_cndmask_b32_e64 v13, v13, v9, s0
	v_cmp_eq_u32_e32 vcc_lo, 0, v5
	v_cndmask_b32_e64 v6, v6, v10, s1
	s_delay_alu instid0(VALU_DEP_3) | instskip(NEXT) | instid1(VALU_DEP_1)
	v_dual_cndmask_b32 v10, v10, v7, s1 :: v_dual_cndmask_b32 v7, v7, v13, s1
	v_alignbit_b32 v14, v6, v10, v11
	s_delay_alu instid0(VALU_DEP_2) | instskip(NEXT) | instid1(VALU_DEP_2)
	v_alignbit_b32 v12, v10, v7, v11
	v_dual_cndmask_b32 v5, v14, v6, vcc_lo :: v_dual_cndmask_b32 v6, v9, v8, s0
	s_delay_alu instid0(VALU_DEP_1) | instskip(NEXT) | instid1(VALU_DEP_1)
	v_bfe_u32 v9, v5, 29, 1
	v_dual_cndmask_b32 v8, v12, v10, vcc_lo :: v_dual_sub_nc_u32 v12, 0, v9
	s_delay_alu instid0(VALU_DEP_1) | instskip(NEXT) | instid1(VALU_DEP_1)
	v_alignbit_b32 v10, v5, v8, 30
	v_dual_cndmask_b32 v6, v13, v6, s1 :: v_dual_bitop2_b32 v10, v10, v12 bitop3:0x14
	s_delay_alu instid0(VALU_DEP_1) | instskip(NEXT) | instid1(VALU_DEP_1)
	v_alignbit_b32 v11, v7, v6, v11
	v_cndmask_b32_e32 v7, v11, v7, vcc_lo
	s_delay_alu instid0(VALU_DEP_3) | instskip(NEXT) | instid1(VALU_DEP_2)
	v_clz_i32_u32_e32 v11, v10
	v_alignbit_b32 v6, v7, v6, 30
	s_delay_alu instid0(VALU_DEP_2) | instskip(NEXT) | instid1(VALU_DEP_2)
	v_min_u32_e32 v11, 32, v11
	v_xor_b32_e32 v6, v6, v12
	v_alignbit_b32 v8, v8, v7, 30
	s_delay_alu instid0(VALU_DEP_1) | instskip(SKIP_1) | instid1(VALU_DEP_1)
	v_dual_lshlrev_b32 v13, 23, v11 :: v_dual_bitop2_b32 v7, v8, v12 bitop3:0x14
	v_dual_sub_nc_u32 v8, 31, v11 :: v_dual_lshrrev_b32 v12, 29, v5
	v_alignbit_b32 v10, v10, v7, v8
	v_alignbit_b32 v6, v7, v6, v8
	s_delay_alu instid0(VALU_DEP_3) | instskip(NEXT) | instid1(VALU_DEP_2)
	v_lshlrev_b32_e32 v7, 31, v12
	v_alignbit_b32 v8, v10, v6, 9
	s_delay_alu instid0(VALU_DEP_2) | instskip(NEXT) | instid1(VALU_DEP_2)
	v_dual_lshrrev_b32 v10, 9, v10 :: v_dual_bitop2_b32 v12, 0.5, v7 bitop3:0x54
	v_clz_i32_u32_e32 v14, v8
	s_delay_alu instid0(VALU_DEP_2) | instskip(SKIP_1) | instid1(VALU_DEP_3)
	v_sub_nc_u32_e32 v12, v12, v13
	v_or_b32_e32 v7, 0x33000000, v7
	v_min_u32_e32 v13, 32, v14
	s_delay_alu instid0(VALU_DEP_1) | instskip(NEXT) | instid1(VALU_DEP_4)
	v_add_lshl_u32 v11, v13, v11, 23
	v_or_b32_e32 v10, v10, v12
	v_not_b32_e32 v12, v13
	s_delay_alu instid0(VALU_DEP_2) | instskip(NEXT) | instid1(VALU_DEP_2)
	v_dual_mul_f32 v14, 0x3fc90fda, v10 :: v_dual_sub_nc_u32 v7, v7, v11
	v_alignbit_b32 v6, v8, v6, v12
	s_delay_alu instid0(VALU_DEP_2) | instskip(NEXT) | instid1(VALU_DEP_2)
	v_fma_f32 v8, 0x3fc90fda, v10, -v14
	v_lshrrev_b32_e32 v6, 9, v6
	s_delay_alu instid0(VALU_DEP_2) | instskip(NEXT) | instid1(VALU_DEP_2)
	v_fmamk_f32 v8, v10, 0x33a22168, v8
	v_or_b32_e32 v6, v7, v6
	s_delay_alu instid0(VALU_DEP_1) | instskip(NEXT) | instid1(VALU_DEP_1)
	v_fmac_f32_e32 v8, 0x3fc90fda, v6
	v_dual_add_f32 v5, v14, v8 :: v_dual_lshrrev_b32 v6, 30, v5
	s_delay_alu instid0(VALU_DEP_1)
	v_add_nc_u32_e32 v6, v9, v6
.LBB87_3:
	s_and_not1_saveexec_b32 s0, s2
; %bb.4:
	v_mul_f32_e32 v5, 0x3f22f983, v2
	s_delay_alu instid0(VALU_DEP_1) | instskip(NEXT) | instid1(VALU_DEP_1)
	v_rndne_f32_e32 v6, v5
	v_fmamk_f32 v5, v6, 0xbfc90fda, v2
	s_delay_alu instid0(VALU_DEP_1) | instskip(NEXT) | instid1(VALU_DEP_1)
	v_fmamk_f32 v5, v6, 0xb3a22168, v5
	v_fmamk_f32 v5, v6, 0xa7c234c4, v5
	v_cvt_i32_f32_e32 v6, v6
; %bb.5:
	s_or_b32 exec_lo, exec_lo, s0
	v_add3_u32 v3, v4, v3, 0x587c5
	s_mov_b32 s0, 0xb94c1982
	s_mov_b32 s1, 0x37d75334
	s_delay_alu instid0(VALU_DEP_1) | instskip(NEXT) | instid1(VALU_DEP_1)
	v_cvt_f32_u32_e32 v3, v3
	v_mul_f32_e32 v3, 0x2f800000, v3
	s_delay_alu instid0(VALU_DEP_1) | instskip(SKIP_1) | instid1(VALU_DEP_1)
	v_cmp_ngt_f32_e32 vcc_lo, 0x2edbe6ff, v3
	v_cndmask_b32_e32 v3, 0x2edbe6ff, v3, vcc_lo
	v_cmp_gt_f32_e32 vcc_lo, 0x800000, v3
	v_cndmask_b32_e64 v4, 0, 32, vcc_lo
	v_cndmask_b32_e64 v7, 0, 0x41b17218, vcc_lo
	s_delay_alu instid0(VALU_DEP_2) | instskip(NEXT) | instid1(VALU_DEP_1)
	v_ldexp_f32 v3, v3, v4
	v_log_f32_e32 v3, v3
	v_nop
	s_delay_alu instid0(TRANS32_DEP_1) | instskip(SKIP_1) | instid1(VALU_DEP_2)
	v_mul_f32_e32 v4, 0x3f317217, v3
	v_cmp_gt_f32_e64 vcc_lo, 0x7f800000, |v3|
	v_fma_f32 v4, 0x3f317217, v3, -v4
	s_delay_alu instid0(VALU_DEP_1) | instskip(NEXT) | instid1(VALU_DEP_1)
	v_fmamk_f32 v4, v3, 0x3377d1cf, v4
	v_fmac_f32_e32 v4, 0x3f317217, v3
	s_delay_alu instid0(VALU_DEP_1) | instskip(NEXT) | instid1(VALU_DEP_1)
	v_cndmask_b32_e32 v3, v3, v4, vcc_lo
	v_sub_f32_e32 v3, v3, v7
	s_delay_alu instid0(VALU_DEP_1) | instskip(NEXT) | instid1(VALU_DEP_1)
	v_mul_f32_e32 v3, -2.0, v3
	v_cmp_gt_f32_e32 vcc_lo, 0xf800000, v3
	v_mul_f32_e32 v4, 0x4f800000, v3
	s_delay_alu instid0(VALU_DEP_1) | instskip(NEXT) | instid1(VALU_DEP_1)
	v_dual_cndmask_b32 v3, v3, v4 :: v_dual_mul_f32 v4, v5, v5
	v_sqrt_f32_e32 v7, v3
	s_delay_alu instid0(VALU_DEP_1) | instskip(NEXT) | instid1(TRANS32_DEP_1)
	v_fmaak_f32 v8, s0, v4, 0x3c0881c4
	v_dual_fmaak_f32 v9, s1, v4, 0xbab64f3b :: v_dual_add_nc_u32 v10, -1, v7
	s_delay_alu instid0(VALU_DEP_2) | instskip(NEXT) | instid1(VALU_DEP_1)
	v_dual_fmaak_f32 v8, v4, v8, 0xbe2aaa9d :: v_dual_add_nc_u32 v11, 1, v7
	v_dual_fma_f32 v12, -v10, v7, v3 :: v_dual_fma_f32 v13, -v11, v7, v3
	s_delay_alu instid0(VALU_DEP_2) | instskip(NEXT) | instid1(VALU_DEP_2)
	v_mul_f32_e32 v8, v4, v8
	v_cmp_ge_f32_e64 s0, 0, v12
	s_delay_alu instid0(VALU_DEP_1) | instskip(NEXT) | instid1(VALU_DEP_4)
	v_dual_fmac_f32 v5, v5, v8 :: v_dual_cndmask_b32 v7, v7, v10, s0
	v_cmp_lt_f32_e64 s0, 0, v13
	v_dual_lshlrev_b32 v6, 30, v6 :: v_dual_bitop2_b32 v10, 1, v6 bitop3:0x40
	v_fmaak_f32 v9, v4, v9, 0x3d2aabf7
	s_delay_alu instid0(VALU_DEP_3) | instskip(NEXT) | instid1(VALU_DEP_3)
	v_cndmask_b32_e64 v7, v7, v11, s0
	v_cmp_eq_u32_e64 s0, 0, v10
	s_delay_alu instid0(VALU_DEP_3) | instskip(NEXT) | instid1(VALU_DEP_1)
	v_fmaak_f32 v9, v4, v9, 0xbf000004
	v_fma_f32 v4, v4, v9, 1.0
	s_delay_alu instid0(VALU_DEP_1) | instskip(SKIP_2) | instid1(VALU_DEP_2)
	v_cndmask_b32_e64 v4, -v5, v4, s0
	v_mul_f32_e32 v5, 0x37800000, v7
	s_mov_b32 s0, exec_lo
	v_bitop3_b32 v4, v6, v4, 0x80000000 bitop3:0x6c
	s_delay_alu instid0(VALU_DEP_2) | instskip(SKIP_1) | instid1(VALU_DEP_3)
	v_cndmask_b32_e32 v5, v7, v5, vcc_lo
	v_cmp_lg_f32_e32 vcc_lo, 0x7f800000, v2
	v_cndmask_b32_e32 v2, 0x7fc00000, v4, vcc_lo
	v_cmp_class_f32_e64 vcc_lo, v3, 0x260
                                        ; implicit-def: $vgpr4
	s_delay_alu instid0(VALU_DEP_4) | instskip(NEXT) | instid1(VALU_DEP_1)
	v_cndmask_b32_e32 v3, v5, v3, vcc_lo
	v_dual_mul_f32 v5, v3, v2 :: v_dual_mov_b32 v3, 0
	s_delay_alu instid0(VALU_DEP_1) | instskip(NEXT) | instid1(VALU_DEP_2)
	v_and_b32_e32 v6, 0x7f800000, v5
	v_mov_b32_e32 v7, v3
	v_and_b32_e32 v2, 0x7fffff, v5
	s_delay_alu instid0(VALU_DEP_2)
	v_cmpx_ne_u64_e32 0x7f800000, v[6:7]
	s_xor_b32 s2, exec_lo, s0
	s_cbranch_execz .LBB87_21
; %bb.6:
	v_and_b32_e32 v6, 0x7fffffff, v5
	v_dual_mov_b32 v7, v3 :: v_dual_lshrrev_b32 v4, 24, v5
	s_delay_alu instid0(VALU_DEP_1) | instskip(NEXT) | instid1(VALU_DEP_2)
	v_cmp_gt_u64_e32 vcc_lo, 0x47600001, v[6:7]
	v_and_b32_e32 v6, 0x80, v4
                                        ; implicit-def: $vgpr4
	s_and_saveexec_b32 s0, vcc_lo
	s_delay_alu instid0(SALU_CYCLE_1)
	s_xor_b32 s3, exec_lo, s0
	s_cbranch_execz .LBB87_18
; %bb.7:
	v_mov_b32_e32 v4, 0
	s_mov_b32 s6, exec_lo
	v_cmpx_ne_u32_e32 0, v5
	s_cbranch_execz .LBB87_17
; %bb.8:
	v_bfe_u32 v7, v5, 23, 8
	v_or_b32_e32 v5, 0x800000, v2
	s_delay_alu instid0(VALU_DEP_2) | instskip(SKIP_2) | instid1(VALU_DEP_3)
	v_sub_nc_u32_e64 v4, 0x71, v7 clamp
	v_cmp_eq_u32_e32 vcc_lo, 0, v7
	v_add_nc_u32_e32 v7, 0xffffff90, v7
	v_cndmask_b32_e64 v14, v4, 0x70, vcc_lo
	v_dual_cndmask_b32 v2, v5, v2 :: v_dual_mov_b32 v5, 0
	s_delay_alu instid0(VALU_DEP_2) | instskip(NEXT) | instid1(VALU_DEP_2)
	v_dual_add_nc_u32 v4, 21, v14 :: v_dual_add_nc_u32 v12, 20, v14
	v_lshrrev_b64 v[8:9], v14, v[2:3]
	s_delay_alu instid0(VALU_DEP_2) | instskip(NEXT) | instid1(VALU_DEP_3)
	v_lshlrev_b64_e64 v[10:11], v4, -1
	v_lshlrev_b64_e64 v[12:13], v12, 1
	s_delay_alu instid0(VALU_DEP_3) | instskip(NEXT) | instid1(VALU_DEP_3)
	v_and_b32_e32 v4, 0x200000, v8
	v_bfi_b32 v3, v11, 0, 0
	s_delay_alu instid0(VALU_DEP_4) | instskip(NEXT) | instid1(VALU_DEP_3)
	v_bfi_b32 v2, v10, 0, v2
	v_cmp_eq_u64_e64 s0, 0, v[4:5]
	s_delay_alu instid0(VALU_DEP_2) | instskip(SKIP_4) | instid1(VALU_DEP_1)
	v_cmp_eq_u64_e64 s1, v[2:3], v[12:13]
	v_cndmask_b32_e64 v2, v7, 0xffffff91, vcc_lo
                                        ; implicit-def: $vgpr7
	s_and_b32 vcc_lo, s0, s1
	s_mov_b32 s0, exec_lo
	v_subrev_co_ci_u32_e64 v4, null, 0, v8, vcc_lo
	v_and_b32_e32 v4, 0x1fffff, v4
	s_delay_alu instid0(VALU_DEP_1) | instskip(NEXT) | instid1(VALU_DEP_1)
	v_dual_lshrrev_b32 v3, 23, v8 :: v_dual_add_nc_u32 v4, v4, v8
	v_add3_u32 v2, v2, v14, v3
	s_delay_alu instid0(VALU_DEP_1) | instskip(NEXT) | instid1(VALU_DEP_1)
	v_add_nc_u32_e32 v3, -1, v2
	v_cmpx_ne_u32_e32 0, v3
	s_xor_b32 s0, exec_lo, s0
	s_cbranch_execz .LBB87_10
; %bb.9:
	v_and_b32_e32 v8, 0x1000000, v4
	v_mov_b32_e32 v9, v5
	v_bfe_u32 v7, v4, 24, 1
	s_delay_alu instid0(VALU_DEP_2) | instskip(NEXT) | instid1(VALU_DEP_2)
	v_cmp_eq_u64_e32 vcc_lo, 0, v[8:9]
	v_lshrrev_b64 v[4:5], v7, v[4:5]
	v_cndmask_b32_e32 v7, v2, v3, vcc_lo
.LBB87_10:
	s_and_not1_saveexec_b32 s0, s0
; %bb.11:
	s_delay_alu instid0(VALU_DEP_2)
	v_bfe_u32 v7, v4, 23, 1
; %bb.12:
	s_or_b32 exec_lo, exec_lo, s0
	s_delay_alu instid0(VALU_DEP_3) | instskip(NEXT) | instid1(VALU_DEP_2)
	v_lshrrev_b64 v[2:3], 21, v[4:5]
	v_cmp_gt_i32_e32 vcc_lo, 32, v7
	v_cmp_ne_u32_e64 s0, 0, v7
                                        ; implicit-def: $vgpr4
	s_delay_alu instid0(VALU_DEP_3) | instskip(NEXT) | instid1(VALU_DEP_1)
	v_dual_cndmask_b32 v3, 0, v3 :: v_dual_cndmask_b32 v2, 3, v2
	v_cmp_ne_u64_e32 vcc_lo, 0, v[2:3]
	s_or_b32 s0, s0, vcc_lo
	s_delay_alu instid0(SALU_CYCLE_1) | instskip(NEXT) | instid1(SALU_CYCLE_1)
	s_and_saveexec_b32 s1, s0
	s_xor_b32 s0, exec_lo, s1
; %bb.13:
	v_min_i32_e32 v3, 31, v7
	s_delay_alu instid0(VALU_DEP_1) | instskip(NEXT) | instid1(VALU_DEP_1)
	v_lshl_or_b32 v3, v3, 2, v6
                                        ; implicit-def: $vgpr6
	v_and_or_b32 v4, v2, 3, v3
; %bb.14:
	s_and_not1_saveexec_b32 s0, s0
; %bb.15:
	v_mov_b32_e32 v4, v6
; %bb.16:
	s_or_b32 exec_lo, exec_lo, s0
.LBB87_17:
	s_delay_alu instid0(SALU_CYCLE_1)
	s_or_b32 exec_lo, exec_lo, s6
                                        ; implicit-def: $vgpr6
.LBB87_18:
	s_and_not1_saveexec_b32 s0, s3
; %bb.19:
	v_or_b32_e32 v4, 0x7b, v6
; %bb.20:
	s_or_b32 exec_lo, exec_lo, s0
                                        ; implicit-def: $vgpr5
                                        ; implicit-def: $vgpr2_vgpr3
.LBB87_21:
	s_and_not1_saveexec_b32 s0, s2
	s_cbranch_execz .LBB87_27
; %bb.22:
	s_mov_b32 s1, exec_lo
                                        ; implicit-def: $vgpr4
	v_cmpx_ne_u64_e32 0, v[2:3]
	s_xor_b32 s1, exec_lo, s1
; %bb.23:
	v_lshrrev_b32_e32 v2, 24, v5
                                        ; implicit-def: $vgpr5
	s_delay_alu instid0(VALU_DEP_1)
	v_or_b32_e32 v4, 0x7f, v2
; %bb.24:
	s_and_not1_saveexec_b32 s1, s1
; %bb.25:
	v_cmp_lt_i32_e32 vcc_lo, -1, v5
	v_cndmask_b32_e64 v4, -4, 0x7c, vcc_lo
; %bb.26:
	s_or_b32 exec_lo, exec_lo, s1
.LBB87_27:
	s_delay_alu instid0(SALU_CYCLE_1)
	s_or_b32 exec_lo, exec_lo, s0
	v_add_nc_u64_e32 v[0:1], s[4:5], v[0:1]
	global_store_b8 v[0:1], v4, off
.LBB87_28:
	s_endpgm
	.section	.rodata,"a",@progbits
	.p2align	6, 0x0
	.amdhsa_kernel _Z11fill_kernelI13hipblaslt_bf8Z21hipblaslt_init_deviceIS0_Ev8ABC_dims24hipblaslt_initializationbPT_mmmmmEUlmE9_EvS5_mmT0_
		.amdhsa_group_segment_fixed_size 0
		.amdhsa_private_segment_fixed_size 0
		.amdhsa_kernarg_size 288
		.amdhsa_user_sgpr_count 2
		.amdhsa_user_sgpr_dispatch_ptr 0
		.amdhsa_user_sgpr_queue_ptr 0
		.amdhsa_user_sgpr_kernarg_segment_ptr 1
		.amdhsa_user_sgpr_dispatch_id 0
		.amdhsa_user_sgpr_kernarg_preload_length 0
		.amdhsa_user_sgpr_kernarg_preload_offset 0
		.amdhsa_user_sgpr_private_segment_size 0
		.amdhsa_wavefront_size32 1
		.amdhsa_uses_dynamic_stack 0
		.amdhsa_enable_private_segment 0
		.amdhsa_system_sgpr_workgroup_id_x 1
		.amdhsa_system_sgpr_workgroup_id_y 0
		.amdhsa_system_sgpr_workgroup_id_z 0
		.amdhsa_system_sgpr_workgroup_info 0
		.amdhsa_system_vgpr_workitem_id 0
		.amdhsa_next_free_vgpr 22
		.amdhsa_next_free_sgpr 10
		.amdhsa_named_barrier_count 0
		.amdhsa_reserve_vcc 1
		.amdhsa_float_round_mode_32 0
		.amdhsa_float_round_mode_16_64 0
		.amdhsa_float_denorm_mode_32 3
		.amdhsa_float_denorm_mode_16_64 3
		.amdhsa_fp16_overflow 0
		.amdhsa_memory_ordered 1
		.amdhsa_forward_progress 1
		.amdhsa_inst_pref_size 18
		.amdhsa_round_robin_scheduling 0
		.amdhsa_exception_fp_ieee_invalid_op 0
		.amdhsa_exception_fp_denorm_src 0
		.amdhsa_exception_fp_ieee_div_zero 0
		.amdhsa_exception_fp_ieee_overflow 0
		.amdhsa_exception_fp_ieee_underflow 0
		.amdhsa_exception_fp_ieee_inexact 0
		.amdhsa_exception_int_div_zero 0
	.end_amdhsa_kernel
	.section	.text._Z11fill_kernelI13hipblaslt_bf8Z21hipblaslt_init_deviceIS0_Ev8ABC_dims24hipblaslt_initializationbPT_mmmmmEUlmE9_EvS5_mmT0_,"axG",@progbits,_Z11fill_kernelI13hipblaslt_bf8Z21hipblaslt_init_deviceIS0_Ev8ABC_dims24hipblaslt_initializationbPT_mmmmmEUlmE9_EvS5_mmT0_,comdat
.Lfunc_end87:
	.size	_Z11fill_kernelI13hipblaslt_bf8Z21hipblaslt_init_deviceIS0_Ev8ABC_dims24hipblaslt_initializationbPT_mmmmmEUlmE9_EvS5_mmT0_, .Lfunc_end87-_Z11fill_kernelI13hipblaslt_bf8Z21hipblaslt_init_deviceIS0_Ev8ABC_dims24hipblaslt_initializationbPT_mmmmmEUlmE9_EvS5_mmT0_
                                        ; -- End function
	.set _Z11fill_kernelI13hipblaslt_bf8Z21hipblaslt_init_deviceIS0_Ev8ABC_dims24hipblaslt_initializationbPT_mmmmmEUlmE9_EvS5_mmT0_.num_vgpr, 22
	.set _Z11fill_kernelI13hipblaslt_bf8Z21hipblaslt_init_deviceIS0_Ev8ABC_dims24hipblaslt_initializationbPT_mmmmmEUlmE9_EvS5_mmT0_.num_agpr, 0
	.set _Z11fill_kernelI13hipblaslt_bf8Z21hipblaslt_init_deviceIS0_Ev8ABC_dims24hipblaslt_initializationbPT_mmmmmEUlmE9_EvS5_mmT0_.numbered_sgpr, 10
	.set _Z11fill_kernelI13hipblaslt_bf8Z21hipblaslt_init_deviceIS0_Ev8ABC_dims24hipblaslt_initializationbPT_mmmmmEUlmE9_EvS5_mmT0_.num_named_barrier, 0
	.set _Z11fill_kernelI13hipblaslt_bf8Z21hipblaslt_init_deviceIS0_Ev8ABC_dims24hipblaslt_initializationbPT_mmmmmEUlmE9_EvS5_mmT0_.private_seg_size, 0
	.set _Z11fill_kernelI13hipblaslt_bf8Z21hipblaslt_init_deviceIS0_Ev8ABC_dims24hipblaslt_initializationbPT_mmmmmEUlmE9_EvS5_mmT0_.uses_vcc, 1
	.set _Z11fill_kernelI13hipblaslt_bf8Z21hipblaslt_init_deviceIS0_Ev8ABC_dims24hipblaslt_initializationbPT_mmmmmEUlmE9_EvS5_mmT0_.uses_flat_scratch, 0
	.set _Z11fill_kernelI13hipblaslt_bf8Z21hipblaslt_init_deviceIS0_Ev8ABC_dims24hipblaslt_initializationbPT_mmmmmEUlmE9_EvS5_mmT0_.has_dyn_sized_stack, 0
	.set _Z11fill_kernelI13hipblaslt_bf8Z21hipblaslt_init_deviceIS0_Ev8ABC_dims24hipblaslt_initializationbPT_mmmmmEUlmE9_EvS5_mmT0_.has_recursion, 0
	.set _Z11fill_kernelI13hipblaslt_bf8Z21hipblaslt_init_deviceIS0_Ev8ABC_dims24hipblaslt_initializationbPT_mmmmmEUlmE9_EvS5_mmT0_.has_indirect_call, 0
	.section	.AMDGPU.csdata,"",@progbits
; Kernel info:
; codeLenInByte = 2188
; TotalNumSgprs: 12
; NumVgprs: 22
; ScratchSize: 0
; MemoryBound: 0
; FloatMode: 240
; IeeeMode: 1
; LDSByteSize: 0 bytes/workgroup (compile time only)
; SGPRBlocks: 0
; VGPRBlocks: 1
; NumSGPRsForWavesPerEU: 12
; NumVGPRsForWavesPerEU: 22
; NamedBarCnt: 0
; Occupancy: 16
; WaveLimiterHint : 0
; COMPUTE_PGM_RSRC2:SCRATCH_EN: 0
; COMPUTE_PGM_RSRC2:USER_SGPR: 2
; COMPUTE_PGM_RSRC2:TRAP_HANDLER: 0
; COMPUTE_PGM_RSRC2:TGID_X_EN: 1
; COMPUTE_PGM_RSRC2:TGID_Y_EN: 0
; COMPUTE_PGM_RSRC2:TGID_Z_EN: 0
; COMPUTE_PGM_RSRC2:TIDIG_COMP_CNT: 0
	.section	.text._Z11fill_kernelIiZ21hipblaslt_init_deviceIiEv8ABC_dims24hipblaslt_initializationbPT_mmmmmEUlmE_EvS4_mmT0_,"axG",@progbits,_Z11fill_kernelIiZ21hipblaslt_init_deviceIiEv8ABC_dims24hipblaslt_initializationbPT_mmmmmEUlmE_EvS4_mmT0_,comdat
	.protected	_Z11fill_kernelIiZ21hipblaslt_init_deviceIiEv8ABC_dims24hipblaslt_initializationbPT_mmmmmEUlmE_EvS4_mmT0_ ; -- Begin function _Z11fill_kernelIiZ21hipblaslt_init_deviceIiEv8ABC_dims24hipblaslt_initializationbPT_mmmmmEUlmE_EvS4_mmT0_
	.globl	_Z11fill_kernelIiZ21hipblaslt_init_deviceIiEv8ABC_dims24hipblaslt_initializationbPT_mmmmmEUlmE_EvS4_mmT0_
	.p2align	8
	.type	_Z11fill_kernelIiZ21hipblaslt_init_deviceIiEv8ABC_dims24hipblaslt_initializationbPT_mmmmmEUlmE_EvS4_mmT0_,@function
_Z11fill_kernelIiZ21hipblaslt_init_deviceIiEv8ABC_dims24hipblaslt_initializationbPT_mmmmmEUlmE_EvS4_mmT0_: ; @_Z11fill_kernelIiZ21hipblaslt_init_deviceIiEv8ABC_dims24hipblaslt_initializationbPT_mmmmmEUlmE_EvS4_mmT0_
; %bb.0:
	s_clause 0x1
	s_load_b32 s2, s[0:1], 0x1b4
	s_load_b128 s[4:7], s[0:1], 0x0
	s_bfe_u32 s3, ttmp6, 0x4000c
	s_and_b32 s8, ttmp6, 15
	s_add_co_i32 s3, s3, 1
	s_getreg_b32 s9, hwreg(HW_REG_IB_STS2, 6, 4)
	s_mul_i32 s3, ttmp9, s3
	v_mov_b32_e32 v1, 0
	s_add_co_i32 s8, s8, s3
	s_wait_kmcnt 0x0
	s_and_b32 s2, s2, 0xffff
	s_cmp_eq_u32 s9, 0
	s_cselect_b32 s3, ttmp9, s8
	s_delay_alu instid0(SALU_CYCLE_1) | instskip(SKIP_1) | instid1(VALU_DEP_1)
	v_mad_u32 v0, s3, s2, v0
	s_mov_b32 s2, exec_lo
	v_cmpx_gt_u64_e64 s[6:7], v[0:1]
	s_cbranch_execz .LBB88_2
; %bb.1:
	s_load_b64 s[2:3], s[0:1], 0x10
	s_wait_kmcnt 0x0
	v_add_nc_u64_e32 v[0:1], s[2:3], v[0:1]
	s_mov_b32 s2, 0x19660d
	s_delay_alu instid0(VALU_DEP_1) | instid1(SALU_CYCLE_1)
	v_mad_nc_u64_u32 v[2:3], v0, s2, 0x3c6ef35f
	s_delay_alu instid0(VALU_DEP_1) | instskip(SKIP_1) | instid1(VALU_DEP_2)
	v_mad_u32 v3, 0x19660d, v1, v3
	v_lshl_add_u64 v[0:1], v[0:1], 2, s[4:5]
	v_lshlrev_b64_e32 v[4:5], 13, v[2:3]
	s_delay_alu instid0(VALU_DEP_1) | instskip(NEXT) | instid1(VALU_DEP_2)
	v_xor_b32_e32 v3, v5, v3
	v_xor_b32_e32 v2, v4, v2
	s_delay_alu instid0(VALU_DEP_1) | instskip(NEXT) | instid1(VALU_DEP_1)
	v_lshrrev_b64 v[4:5], 17, v[2:3]
	v_xor_b32_e32 v3, v5, v3
	s_delay_alu instid0(VALU_DEP_2) | instskip(NEXT) | instid1(VALU_DEP_1)
	v_xor_b32_e32 v2, v4, v2
	v_lshlrev_b64_e32 v[4:5], 5, v[2:3]
	s_delay_alu instid0(VALU_DEP_1) | instskip(NEXT) | instid1(VALU_DEP_2)
	v_xor_b32_e32 v3, v5, v3
	v_xor_b32_e32 v2, v4, v2
	s_delay_alu instid0(VALU_DEP_1) | instskip(NEXT) | instid1(VALU_DEP_1)
	v_lshlrev_b64_e32 v[4:5], 13, v[2:3]
	v_xor_b32_e32 v3, v5, v3
	s_delay_alu instid0(VALU_DEP_2) | instskip(NEXT) | instid1(VALU_DEP_1)
	v_xor_b32_e32 v2, v4, v2
	v_lshrrev_b64 v[4:5], 17, v[2:3]
	s_delay_alu instid0(VALU_DEP_1) | instskip(NEXT) | instid1(VALU_DEP_2)
	v_xor_b32_e32 v3, v5, v3
	v_xor_b32_e32 v2, v4, v2
	s_delay_alu instid0(VALU_DEP_1) | instskip(NEXT) | instid1(VALU_DEP_1)
	v_lshlrev_b64_e32 v[4:5], 5, v[2:3]
	v_xor_b32_e32 v3, v5, v3
	s_delay_alu instid0(VALU_DEP_2) | instskip(NEXT) | instid1(VALU_DEP_1)
	v_xor_b32_e32 v2, v4, v2
	v_lshlrev_b64_e32 v[4:5], 13, v[2:3]
	s_delay_alu instid0(VALU_DEP_1) | instskip(NEXT) | instid1(VALU_DEP_2)
	v_xor_b32_e32 v3, v5, v3
	v_xor_b32_e32 v2, v4, v2
	s_delay_alu instid0(VALU_DEP_1) | instskip(NEXT) | instid1(VALU_DEP_1)
	v_alignbit_b32 v3, v3, v2, 17
	v_xor_b32_e32 v2, v3, v2
	s_delay_alu instid0(VALU_DEP_1) | instskip(NEXT) | instid1(VALU_DEP_1)
	v_lshlrev_b32_e32 v3, 5, v2
	v_xor_b32_e32 v2, v3, v2
	s_delay_alu instid0(VALU_DEP_1) | instskip(NEXT) | instid1(VALU_DEP_1)
	v_mul_hi_u32 v3, 0x51eb851f, v2
	v_lshrrev_b32_e32 v3, 5, v3
	s_delay_alu instid0(VALU_DEP_1) | instskip(NEXT) | instid1(VALU_DEP_1)
	v_mul_lo_u32 v3, 0x64, v3
	v_sub_nc_u32_e32 v2, v2, v3
	global_load_b32 v2, v2, s[0:1] offset:24 scale_offset
	s_wait_loadcnt 0x0
	global_store_b32 v[0:1], v2, off
.LBB88_2:
	s_endpgm
	.section	.rodata,"a",@progbits
	.p2align	6, 0x0
	.amdhsa_kernel _Z11fill_kernelIiZ21hipblaslt_init_deviceIiEv8ABC_dims24hipblaslt_initializationbPT_mmmmmEUlmE_EvS4_mmT0_
		.amdhsa_group_segment_fixed_size 0
		.amdhsa_private_segment_fixed_size 0
		.amdhsa_kernarg_size 680
		.amdhsa_user_sgpr_count 2
		.amdhsa_user_sgpr_dispatch_ptr 0
		.amdhsa_user_sgpr_queue_ptr 0
		.amdhsa_user_sgpr_kernarg_segment_ptr 1
		.amdhsa_user_sgpr_dispatch_id 0
		.amdhsa_user_sgpr_kernarg_preload_length 0
		.amdhsa_user_sgpr_kernarg_preload_offset 0
		.amdhsa_user_sgpr_private_segment_size 0
		.amdhsa_wavefront_size32 1
		.amdhsa_uses_dynamic_stack 0
		.amdhsa_enable_private_segment 0
		.amdhsa_system_sgpr_workgroup_id_x 1
		.amdhsa_system_sgpr_workgroup_id_y 0
		.amdhsa_system_sgpr_workgroup_id_z 0
		.amdhsa_system_sgpr_workgroup_info 0
		.amdhsa_system_vgpr_workitem_id 0
		.amdhsa_next_free_vgpr 6
		.amdhsa_next_free_sgpr 10
		.amdhsa_named_barrier_count 0
		.amdhsa_reserve_vcc 0
		.amdhsa_float_round_mode_32 0
		.amdhsa_float_round_mode_16_64 0
		.amdhsa_float_denorm_mode_32 3
		.amdhsa_float_denorm_mode_16_64 3
		.amdhsa_fp16_overflow 0
		.amdhsa_memory_ordered 1
		.amdhsa_forward_progress 1
		.amdhsa_inst_pref_size 4
		.amdhsa_round_robin_scheduling 0
		.amdhsa_exception_fp_ieee_invalid_op 0
		.amdhsa_exception_fp_denorm_src 0
		.amdhsa_exception_fp_ieee_div_zero 0
		.amdhsa_exception_fp_ieee_overflow 0
		.amdhsa_exception_fp_ieee_underflow 0
		.amdhsa_exception_fp_ieee_inexact 0
		.amdhsa_exception_int_div_zero 0
	.end_amdhsa_kernel
	.section	.text._Z11fill_kernelIiZ21hipblaslt_init_deviceIiEv8ABC_dims24hipblaslt_initializationbPT_mmmmmEUlmE_EvS4_mmT0_,"axG",@progbits,_Z11fill_kernelIiZ21hipblaslt_init_deviceIiEv8ABC_dims24hipblaslt_initializationbPT_mmmmmEUlmE_EvS4_mmT0_,comdat
.Lfunc_end88:
	.size	_Z11fill_kernelIiZ21hipblaslt_init_deviceIiEv8ABC_dims24hipblaslt_initializationbPT_mmmmmEUlmE_EvS4_mmT0_, .Lfunc_end88-_Z11fill_kernelIiZ21hipblaslt_init_deviceIiEv8ABC_dims24hipblaslt_initializationbPT_mmmmmEUlmE_EvS4_mmT0_
                                        ; -- End function
	.set _Z11fill_kernelIiZ21hipblaslt_init_deviceIiEv8ABC_dims24hipblaslt_initializationbPT_mmmmmEUlmE_EvS4_mmT0_.num_vgpr, 6
	.set _Z11fill_kernelIiZ21hipblaslt_init_deviceIiEv8ABC_dims24hipblaslt_initializationbPT_mmmmmEUlmE_EvS4_mmT0_.num_agpr, 0
	.set _Z11fill_kernelIiZ21hipblaslt_init_deviceIiEv8ABC_dims24hipblaslt_initializationbPT_mmmmmEUlmE_EvS4_mmT0_.numbered_sgpr, 10
	.set _Z11fill_kernelIiZ21hipblaslt_init_deviceIiEv8ABC_dims24hipblaslt_initializationbPT_mmmmmEUlmE_EvS4_mmT0_.num_named_barrier, 0
	.set _Z11fill_kernelIiZ21hipblaslt_init_deviceIiEv8ABC_dims24hipblaslt_initializationbPT_mmmmmEUlmE_EvS4_mmT0_.private_seg_size, 0
	.set _Z11fill_kernelIiZ21hipblaslt_init_deviceIiEv8ABC_dims24hipblaslt_initializationbPT_mmmmmEUlmE_EvS4_mmT0_.uses_vcc, 0
	.set _Z11fill_kernelIiZ21hipblaslt_init_deviceIiEv8ABC_dims24hipblaslt_initializationbPT_mmmmmEUlmE_EvS4_mmT0_.uses_flat_scratch, 0
	.set _Z11fill_kernelIiZ21hipblaslt_init_deviceIiEv8ABC_dims24hipblaslt_initializationbPT_mmmmmEUlmE_EvS4_mmT0_.has_dyn_sized_stack, 0
	.set _Z11fill_kernelIiZ21hipblaslt_init_deviceIiEv8ABC_dims24hipblaslt_initializationbPT_mmmmmEUlmE_EvS4_mmT0_.has_recursion, 0
	.set _Z11fill_kernelIiZ21hipblaslt_init_deviceIiEv8ABC_dims24hipblaslt_initializationbPT_mmmmmEUlmE_EvS4_mmT0_.has_indirect_call, 0
	.section	.AMDGPU.csdata,"",@progbits
; Kernel info:
; codeLenInByte = 396
; TotalNumSgprs: 10
; NumVgprs: 6
; ScratchSize: 0
; MemoryBound: 0
; FloatMode: 240
; IeeeMode: 1
; LDSByteSize: 0 bytes/workgroup (compile time only)
; SGPRBlocks: 0
; VGPRBlocks: 0
; NumSGPRsForWavesPerEU: 10
; NumVGPRsForWavesPerEU: 6
; NamedBarCnt: 0
; Occupancy: 16
; WaveLimiterHint : 0
; COMPUTE_PGM_RSRC2:SCRATCH_EN: 0
; COMPUTE_PGM_RSRC2:USER_SGPR: 2
; COMPUTE_PGM_RSRC2:TRAP_HANDLER: 0
; COMPUTE_PGM_RSRC2:TGID_X_EN: 1
; COMPUTE_PGM_RSRC2:TGID_Y_EN: 0
; COMPUTE_PGM_RSRC2:TGID_Z_EN: 0
; COMPUTE_PGM_RSRC2:TIDIG_COMP_CNT: 0
	.section	.text._Z11fill_kernelIiZ21hipblaslt_init_deviceIiEv8ABC_dims24hipblaslt_initializationbPT_mmmmmEUlmE0_EvS4_mmT0_,"axG",@progbits,_Z11fill_kernelIiZ21hipblaslt_init_deviceIiEv8ABC_dims24hipblaslt_initializationbPT_mmmmmEUlmE0_EvS4_mmT0_,comdat
	.protected	_Z11fill_kernelIiZ21hipblaslt_init_deviceIiEv8ABC_dims24hipblaslt_initializationbPT_mmmmmEUlmE0_EvS4_mmT0_ ; -- Begin function _Z11fill_kernelIiZ21hipblaslt_init_deviceIiEv8ABC_dims24hipblaslt_initializationbPT_mmmmmEUlmE0_EvS4_mmT0_
	.globl	_Z11fill_kernelIiZ21hipblaslt_init_deviceIiEv8ABC_dims24hipblaslt_initializationbPT_mmmmmEUlmE0_EvS4_mmT0_
	.p2align	8
	.type	_Z11fill_kernelIiZ21hipblaslt_init_deviceIiEv8ABC_dims24hipblaslt_initializationbPT_mmmmmEUlmE0_EvS4_mmT0_,@function
_Z11fill_kernelIiZ21hipblaslt_init_deviceIiEv8ABC_dims24hipblaslt_initializationbPT_mmmmmEUlmE0_EvS4_mmT0_: ; @_Z11fill_kernelIiZ21hipblaslt_init_deviceIiEv8ABC_dims24hipblaslt_initializationbPT_mmmmmEUlmE0_EvS4_mmT0_
; %bb.0:
	s_clause 0x1
	s_load_b32 s2, s[0:1], 0x2c
	s_load_b128 s[4:7], s[0:1], 0x0
	s_bfe_u32 s3, ttmp6, 0x4000c
	s_and_b32 s8, ttmp6, 15
	s_add_co_i32 s3, s3, 1
	s_getreg_b32 s9, hwreg(HW_REG_IB_STS2, 6, 4)
	s_mul_i32 s3, ttmp9, s3
	v_mov_b32_e32 v1, 0
	s_add_co_i32 s8, s8, s3
	s_wait_kmcnt 0x0
	s_and_b32 s2, s2, 0xffff
	s_cmp_eq_u32 s9, 0
	s_cselect_b32 s3, ttmp9, s8
	s_delay_alu instid0(SALU_CYCLE_1) | instskip(SKIP_1) | instid1(VALU_DEP_1)
	v_mad_u32 v0, s3, s2, v0
	s_mov_b32 s2, exec_lo
	v_cmpx_gt_u64_e64 s[6:7], v[0:1]
	s_cbranch_execz .LBB89_2
; %bb.1:
	s_load_b64 s[0:1], s[0:1], 0x10
	s_wait_kmcnt 0x0
	v_add_nc_u64_e32 v[0:1], s[0:1], v[0:1]
	s_mov_b32 s0, 0x19660d
	s_delay_alu instid0(VALU_DEP_1) | instid1(SALU_CYCLE_1)
	v_mad_nc_u64_u32 v[2:3], v0, s0, 0x3c6ef35f
	s_delay_alu instid0(VALU_DEP_1) | instskip(SKIP_1) | instid1(VALU_DEP_2)
	v_mad_u32 v3, 0x19660d, v1, v3
	v_lshl_add_u64 v[0:1], v[0:1], 2, s[4:5]
	v_lshlrev_b64_e32 v[4:5], 13, v[2:3]
	s_delay_alu instid0(VALU_DEP_1) | instskip(NEXT) | instid1(VALU_DEP_2)
	v_xor_b32_e32 v3, v5, v3
	v_xor_b32_e32 v2, v4, v2
	s_delay_alu instid0(VALU_DEP_1) | instskip(NEXT) | instid1(VALU_DEP_1)
	v_lshrrev_b64 v[4:5], 17, v[2:3]
	v_xor_b32_e32 v3, v5, v3
	s_delay_alu instid0(VALU_DEP_2) | instskip(NEXT) | instid1(VALU_DEP_1)
	v_xor_b32_e32 v2, v4, v2
	v_lshlrev_b64_e32 v[4:5], 5, v[2:3]
	s_delay_alu instid0(VALU_DEP_1) | instskip(NEXT) | instid1(VALU_DEP_2)
	v_xor_b32_e32 v3, v5, v3
	v_xor_b32_e32 v2, v4, v2
	s_delay_alu instid0(VALU_DEP_1) | instskip(NEXT) | instid1(VALU_DEP_1)
	v_lshlrev_b64_e32 v[4:5], 13, v[2:3]
	v_xor_b32_e32 v3, v5, v3
	s_delay_alu instid0(VALU_DEP_2) | instskip(NEXT) | instid1(VALU_DEP_1)
	v_xor_b32_e32 v2, v4, v2
	v_lshrrev_b64 v[4:5], 17, v[2:3]
	s_delay_alu instid0(VALU_DEP_1) | instskip(NEXT) | instid1(VALU_DEP_2)
	v_xor_b32_e32 v3, v5, v3
	v_xor_b32_e32 v2, v4, v2
	s_delay_alu instid0(VALU_DEP_1) | instskip(NEXT) | instid1(VALU_DEP_1)
	v_lshlrev_b64_e32 v[4:5], 5, v[2:3]
	v_xor_b32_e32 v3, v5, v3
	s_delay_alu instid0(VALU_DEP_2) | instskip(NEXT) | instid1(VALU_DEP_1)
	v_xor_b32_e32 v2, v4, v2
	v_lshlrev_b64_e32 v[4:5], 13, v[2:3]
	s_delay_alu instid0(VALU_DEP_1) | instskip(NEXT) | instid1(VALU_DEP_2)
	v_xor_b32_e32 v3, v5, v3
	v_xor_b32_e32 v2, v4, v2
	s_delay_alu instid0(VALU_DEP_1) | instskip(NEXT) | instid1(VALU_DEP_1)
	v_alignbit_b32 v3, v3, v2, 17
	v_xor_b32_e32 v2, v3, v2
	s_delay_alu instid0(VALU_DEP_1) | instskip(NEXT) | instid1(VALU_DEP_1)
	v_lshlrev_b32_e32 v3, 5, v2
	v_xor_b32_e32 v2, v3, v2
	s_delay_alu instid0(VALU_DEP_1) | instskip(NEXT) | instid1(VALU_DEP_1)
	v_mul_hi_u32 v3, 0xcccccccd, v2
	v_lshrrev_b32_e32 v3, 3, v3
	s_delay_alu instid0(VALU_DEP_1) | instskip(NEXT) | instid1(VALU_DEP_1)
	v_mul_lo_u32 v3, v3, 10
	v_sub_nc_u32_e32 v2, v2, v3
	s_delay_alu instid0(VALU_DEP_1)
	v_add_nc_u32_e32 v2, 1, v2
	global_store_b32 v[0:1], v2, off
.LBB89_2:
	s_endpgm
	.section	.rodata,"a",@progbits
	.p2align	6, 0x0
	.amdhsa_kernel _Z11fill_kernelIiZ21hipblaslt_init_deviceIiEv8ABC_dims24hipblaslt_initializationbPT_mmmmmEUlmE0_EvS4_mmT0_
		.amdhsa_group_segment_fixed_size 0
		.amdhsa_private_segment_fixed_size 0
		.amdhsa_kernarg_size 288
		.amdhsa_user_sgpr_count 2
		.amdhsa_user_sgpr_dispatch_ptr 0
		.amdhsa_user_sgpr_queue_ptr 0
		.amdhsa_user_sgpr_kernarg_segment_ptr 1
		.amdhsa_user_sgpr_dispatch_id 0
		.amdhsa_user_sgpr_kernarg_preload_length 0
		.amdhsa_user_sgpr_kernarg_preload_offset 0
		.amdhsa_user_sgpr_private_segment_size 0
		.amdhsa_wavefront_size32 1
		.amdhsa_uses_dynamic_stack 0
		.amdhsa_enable_private_segment 0
		.amdhsa_system_sgpr_workgroup_id_x 1
		.amdhsa_system_sgpr_workgroup_id_y 0
		.amdhsa_system_sgpr_workgroup_id_z 0
		.amdhsa_system_sgpr_workgroup_info 0
		.amdhsa_system_vgpr_workitem_id 0
		.amdhsa_next_free_vgpr 6
		.amdhsa_next_free_sgpr 10
		.amdhsa_named_barrier_count 0
		.amdhsa_reserve_vcc 0
		.amdhsa_float_round_mode_32 0
		.amdhsa_float_round_mode_16_64 0
		.amdhsa_float_denorm_mode_32 3
		.amdhsa_float_denorm_mode_16_64 3
		.amdhsa_fp16_overflow 0
		.amdhsa_memory_ordered 1
		.amdhsa_forward_progress 1
		.amdhsa_inst_pref_size 3
		.amdhsa_round_robin_scheduling 0
		.amdhsa_exception_fp_ieee_invalid_op 0
		.amdhsa_exception_fp_denorm_src 0
		.amdhsa_exception_fp_ieee_div_zero 0
		.amdhsa_exception_fp_ieee_overflow 0
		.amdhsa_exception_fp_ieee_underflow 0
		.amdhsa_exception_fp_ieee_inexact 0
		.amdhsa_exception_int_div_zero 0
	.end_amdhsa_kernel
	.section	.text._Z11fill_kernelIiZ21hipblaslt_init_deviceIiEv8ABC_dims24hipblaslt_initializationbPT_mmmmmEUlmE0_EvS4_mmT0_,"axG",@progbits,_Z11fill_kernelIiZ21hipblaslt_init_deviceIiEv8ABC_dims24hipblaslt_initializationbPT_mmmmmEUlmE0_EvS4_mmT0_,comdat
.Lfunc_end89:
	.size	_Z11fill_kernelIiZ21hipblaslt_init_deviceIiEv8ABC_dims24hipblaslt_initializationbPT_mmmmmEUlmE0_EvS4_mmT0_, .Lfunc_end89-_Z11fill_kernelIiZ21hipblaslt_init_deviceIiEv8ABC_dims24hipblaslt_initializationbPT_mmmmmEUlmE0_EvS4_mmT0_
                                        ; -- End function
	.set _Z11fill_kernelIiZ21hipblaslt_init_deviceIiEv8ABC_dims24hipblaslt_initializationbPT_mmmmmEUlmE0_EvS4_mmT0_.num_vgpr, 6
	.set _Z11fill_kernelIiZ21hipblaslt_init_deviceIiEv8ABC_dims24hipblaslt_initializationbPT_mmmmmEUlmE0_EvS4_mmT0_.num_agpr, 0
	.set _Z11fill_kernelIiZ21hipblaslt_init_deviceIiEv8ABC_dims24hipblaslt_initializationbPT_mmmmmEUlmE0_EvS4_mmT0_.numbered_sgpr, 10
	.set _Z11fill_kernelIiZ21hipblaslt_init_deviceIiEv8ABC_dims24hipblaslt_initializationbPT_mmmmmEUlmE0_EvS4_mmT0_.num_named_barrier, 0
	.set _Z11fill_kernelIiZ21hipblaslt_init_deviceIiEv8ABC_dims24hipblaslt_initializationbPT_mmmmmEUlmE0_EvS4_mmT0_.private_seg_size, 0
	.set _Z11fill_kernelIiZ21hipblaslt_init_deviceIiEv8ABC_dims24hipblaslt_initializationbPT_mmmmmEUlmE0_EvS4_mmT0_.uses_vcc, 0
	.set _Z11fill_kernelIiZ21hipblaslt_init_deviceIiEv8ABC_dims24hipblaslt_initializationbPT_mmmmmEUlmE0_EvS4_mmT0_.uses_flat_scratch, 0
	.set _Z11fill_kernelIiZ21hipblaslt_init_deviceIiEv8ABC_dims24hipblaslt_initializationbPT_mmmmmEUlmE0_EvS4_mmT0_.has_dyn_sized_stack, 0
	.set _Z11fill_kernelIiZ21hipblaslt_init_deviceIiEv8ABC_dims24hipblaslt_initializationbPT_mmmmmEUlmE0_EvS4_mmT0_.has_recursion, 0
	.set _Z11fill_kernelIiZ21hipblaslt_init_deviceIiEv8ABC_dims24hipblaslt_initializationbPT_mmmmmEUlmE0_EvS4_mmT0_.has_indirect_call, 0
	.section	.AMDGPU.csdata,"",@progbits
; Kernel info:
; codeLenInByte = 384
; TotalNumSgprs: 10
; NumVgprs: 6
; ScratchSize: 0
; MemoryBound: 0
; FloatMode: 240
; IeeeMode: 1
; LDSByteSize: 0 bytes/workgroup (compile time only)
; SGPRBlocks: 0
; VGPRBlocks: 0
; NumSGPRsForWavesPerEU: 10
; NumVGPRsForWavesPerEU: 6
; NamedBarCnt: 0
; Occupancy: 16
; WaveLimiterHint : 0
; COMPUTE_PGM_RSRC2:SCRATCH_EN: 0
; COMPUTE_PGM_RSRC2:USER_SGPR: 2
; COMPUTE_PGM_RSRC2:TRAP_HANDLER: 0
; COMPUTE_PGM_RSRC2:TGID_X_EN: 1
; COMPUTE_PGM_RSRC2:TGID_Y_EN: 0
; COMPUTE_PGM_RSRC2:TGID_Z_EN: 0
; COMPUTE_PGM_RSRC2:TIDIG_COMP_CNT: 0
	.section	.text._Z11fill_kernelIiZ21hipblaslt_init_deviceIiEv8ABC_dims24hipblaslt_initializationbPT_mmmmmEUlmE1_EvS4_mmT0_,"axG",@progbits,_Z11fill_kernelIiZ21hipblaslt_init_deviceIiEv8ABC_dims24hipblaslt_initializationbPT_mmmmmEUlmE1_EvS4_mmT0_,comdat
	.protected	_Z11fill_kernelIiZ21hipblaslt_init_deviceIiEv8ABC_dims24hipblaslt_initializationbPT_mmmmmEUlmE1_EvS4_mmT0_ ; -- Begin function _Z11fill_kernelIiZ21hipblaslt_init_deviceIiEv8ABC_dims24hipblaslt_initializationbPT_mmmmmEUlmE1_EvS4_mmT0_
	.globl	_Z11fill_kernelIiZ21hipblaslt_init_deviceIiEv8ABC_dims24hipblaslt_initializationbPT_mmmmmEUlmE1_EvS4_mmT0_
	.p2align	8
	.type	_Z11fill_kernelIiZ21hipblaslt_init_deviceIiEv8ABC_dims24hipblaslt_initializationbPT_mmmmmEUlmE1_EvS4_mmT0_,@function
_Z11fill_kernelIiZ21hipblaslt_init_deviceIiEv8ABC_dims24hipblaslt_initializationbPT_mmmmmEUlmE1_EvS4_mmT0_: ; @_Z11fill_kernelIiZ21hipblaslt_init_deviceIiEv8ABC_dims24hipblaslt_initializationbPT_mmmmmEUlmE1_EvS4_mmT0_
; %bb.0:
	s_clause 0x1
	s_load_b32 s2, s[0:1], 0x34
	s_load_b128 s[4:7], s[0:1], 0x0
	s_bfe_u32 s3, ttmp6, 0x4000c
	s_and_b32 s8, ttmp6, 15
	s_add_co_i32 s3, s3, 1
	s_getreg_b32 s9, hwreg(HW_REG_IB_STS2, 6, 4)
	s_mul_i32 s3, ttmp9, s3
	v_mov_b32_e32 v3, 0
	s_add_co_i32 s8, s8, s3
	s_wait_kmcnt 0x0
	s_and_b32 s2, s2, 0xffff
	s_cmp_eq_u32 s9, 0
	s_cselect_b32 s3, ttmp9, s8
	s_delay_alu instid0(SALU_CYCLE_1) | instskip(SKIP_1) | instid1(VALU_DEP_1)
	v_mad_u32 v2, s3, s2, v0
	s_mov_b32 s2, exec_lo
	v_cmpx_gt_u64_e64 s[6:7], v[2:3]
	s_cbranch_execz .LBB90_10
; %bb.1:
	s_clause 0x1
	s_load_b64 s[2:3], s[0:1], 0x10
	s_load_b128 s[8:11], s[0:1], 0x18
	s_wait_xcnt 0x0
	s_mov_b32 s0, exec_lo
	v_mov_b32_e32 v4, v3
	s_wait_kmcnt 0x0
	v_add_nc_u64_e32 v[0:1], s[2:3], v[2:3]
                                        ; implicit-def: $vgpr2_vgpr3
	s_delay_alu instid0(VALU_DEP_1) | instskip(NEXT) | instid1(VALU_DEP_1)
	v_or_b32_e32 v5, s9, v1
	v_cmpx_ne_u64_e32 0, v[4:5]
	s_xor_b32 s1, exec_lo, s0
	s_cbranch_execz .LBB90_3
; %bb.2:
	s_cvt_f32_u32 s0, s8
	s_cvt_f32_u32 s2, s9
	s_sub_nc_u64 s[6:7], 0, s[8:9]
	s_mov_b32 s15, 0
	v_dual_mov_b32 v3, 0 :: v_dual_mov_b32 v2, v0
	s_fmamk_f32 s0, s2, 0x4f800000, s0
	s_delay_alu instid0(SALU_CYCLE_3) | instskip(NEXT) | instid1(TRANS32_DEP_1)
	v_s_rcp_f32 s0, s0
	s_mul_f32 s0, s0, 0x5f7ffffc
	s_delay_alu instid0(SALU_CYCLE_3) | instskip(NEXT) | instid1(SALU_CYCLE_3)
	s_mul_f32 s2, s0, 0x2f800000
	s_trunc_f32 s2, s2
	s_delay_alu instid0(SALU_CYCLE_3) | instskip(SKIP_1) | instid1(SALU_CYCLE_2)
	s_fmamk_f32 s0, s2, 0xcf800000, s0
	s_cvt_u32_f32 s3, s2
	s_cvt_u32_f32 s2, s0
	s_delay_alu instid0(SALU_CYCLE_3) | instskip(NEXT) | instid1(SALU_CYCLE_1)
	s_mul_u64 s[12:13], s[6:7], s[2:3]
	s_mul_hi_u32 s17, s2, s13
	s_mul_i32 s16, s2, s13
	s_mul_hi_u32 s14, s2, s12
	s_mul_i32 s18, s3, s12
	s_add_nc_u64 s[16:17], s[14:15], s[16:17]
	s_mul_hi_u32 s0, s3, s12
	s_mul_hi_u32 s19, s3, s13
	s_mul_i32 s12, s3, s13
	s_add_co_u32 s13, s16, s18
	s_add_co_ci_u32 s14, s17, s0
	s_add_co_ci_u32 s13, s19, 0
	s_delay_alu instid0(SALU_CYCLE_1) | instskip(NEXT) | instid1(SALU_CYCLE_1)
	s_add_nc_u64 s[12:13], s[14:15], s[12:13]
	s_add_co_u32 s2, s2, s12
	s_cselect_b32 s0, -1, 0
	s_delay_alu instid0(SALU_CYCLE_1) | instskip(SKIP_1) | instid1(SALU_CYCLE_1)
	s_cmp_lg_u32 s0, 0
	s_add_co_ci_u32 s3, s3, s13
	s_mul_u64 s[6:7], s[6:7], s[2:3]
	s_delay_alu instid0(SALU_CYCLE_1)
	s_mul_hi_u32 s13, s2, s7
	s_mul_i32 s12, s2, s7
	s_mul_hi_u32 s14, s2, s6
	s_mul_i32 s16, s3, s6
	s_add_nc_u64 s[12:13], s[14:15], s[12:13]
	s_mul_hi_u32 s0, s3, s6
	s_mul_hi_u32 s17, s3, s7
	s_mul_i32 s6, s3, s7
	s_add_co_u32 s7, s12, s16
	s_add_co_ci_u32 s14, s13, s0
	s_add_co_ci_u32 s7, s17, 0
	s_delay_alu instid0(SALU_CYCLE_1) | instskip(NEXT) | instid1(SALU_CYCLE_1)
	s_add_nc_u64 s[6:7], s[14:15], s[6:7]
	s_add_co_u32 s0, s2, s6
	s_cselect_b32 s2, -1, 0
	s_delay_alu instid0(SALU_CYCLE_1)
	s_cmp_lg_u32 s2, 0
	s_add_co_ci_u32 s14, s3, s7
	s_mov_b64 s[2:3], 0xffffffff
	v_mul_u64_e32 v[4:5], s[14:15], v[2:3]
	v_mul_hi_u32 v2, v0, s0
	s_and_b64 s[2:3], s[0:1], s[2:3]
	s_delay_alu instid0(VALU_DEP_1) | instskip(SKIP_1) | instid1(VALU_DEP_1)
	v_add_nc_u64_e32 v[4:5], v[2:3], v[4:5]
	v_mov_b32_e32 v2, v1
	v_mul_u64_e32 v[6:7], s[2:3], v[2:3]
	v_mul_u64_e32 v[8:9], s[14:15], v[2:3]
	s_delay_alu instid0(VALU_DEP_2) | instskip(NEXT) | instid1(VALU_DEP_3)
	v_add_co_u32 v2, vcc_lo, v4, v6
	v_add_co_ci_u32_e32 v2, vcc_lo, v5, v7, vcc_lo
	s_delay_alu instid0(VALU_DEP_3) | instskip(NEXT) | instid1(VALU_DEP_1)
	v_add_co_ci_u32_e32 v9, vcc_lo, 0, v9, vcc_lo
	v_add_nc_u64_e32 v[2:3], v[2:3], v[8:9]
	s_delay_alu instid0(VALU_DEP_1) | instskip(NEXT) | instid1(VALU_DEP_1)
	v_mul_u64_e32 v[2:3], s[8:9], v[2:3]
	v_sub_nc_u32_e32 v4, v1, v3
	s_delay_alu instid0(VALU_DEP_2) | instskip(NEXT) | instid1(VALU_DEP_1)
	v_sub_co_u32 v2, vcc_lo, v0, v2
	v_sub_co_ci_u32_e64 v3, null, v1, v3, vcc_lo
	s_delay_alu instid0(VALU_DEP_3) | instskip(NEXT) | instid1(VALU_DEP_3)
	v_subrev_co_ci_u32_e64 v4, null, s9, v4, vcc_lo
	v_sub_co_u32 v5, vcc_lo, v2, s8
	v_cmp_le_u32_e64 s0, s8, v2
	s_delay_alu instid0(VALU_DEP_3) | instskip(SKIP_1) | instid1(VALU_DEP_3)
	v_subrev_co_ci_u32_e64 v6, null, 0, v4, vcc_lo
	v_subrev_co_ci_u32_e64 v4, null, s9, v4, vcc_lo
	v_cndmask_b32_e64 v7, 0, -1, s0
	v_cmp_le_u32_e64 s0, s8, v5
	v_cmp_le_u32_e32 vcc_lo, s9, v3
	s_delay_alu instid0(VALU_DEP_2) | instskip(SKIP_3) | instid1(VALU_DEP_3)
	v_cndmask_b32_e64 v8, 0, -1, s0
	v_cmp_le_u32_e64 s0, s9, v6
	v_cndmask_b32_e64 v10, 0, -1, vcc_lo
	v_cmp_eq_u32_e32 vcc_lo, s9, v6
	v_cndmask_b32_e64 v9, 0, -1, s0
	v_cmp_eq_u32_e64 s0, s9, v3
	s_delay_alu instid0(VALU_DEP_1) | instskip(SKIP_1) | instid1(VALU_DEP_1)
	v_dual_cndmask_b32 v8, v9, v8, vcc_lo :: v_dual_cndmask_b32 v7, v10, v7, s0
	v_sub_co_u32 v9, vcc_lo, v5, s8
	v_subrev_co_ci_u32_e64 v4, null, 0, v4, vcc_lo
	s_delay_alu instid0(VALU_DEP_3) | instskip(NEXT) | instid1(VALU_DEP_2)
	v_cmp_ne_u32_e32 vcc_lo, 0, v8
	v_dual_cndmask_b32 v4, v6, v4 :: v_dual_cndmask_b32 v5, v5, v9
	v_cmp_ne_u32_e32 vcc_lo, 0, v7
	s_delay_alu instid0(VALU_DEP_2)
	v_dual_cndmask_b32 v3, v3, v4 :: v_dual_cndmask_b32 v2, v2, v5
.LBB90_3:
	s_and_not1_saveexec_b32 s0, s1
	s_cbranch_execz .LBB90_5
; %bb.4:
	v_cvt_f32_u32_e32 v2, s8
	s_sub_co_i32 s1, 0, s8
	s_delay_alu instid0(VALU_DEP_1) | instskip(SKIP_1) | instid1(TRANS32_DEP_1)
	v_rcp_iflag_f32_e32 v2, v2
	v_nop
	v_mul_f32_e32 v2, 0x4f7ffffe, v2
	s_delay_alu instid0(VALU_DEP_1) | instskip(NEXT) | instid1(VALU_DEP_1)
	v_cvt_u32_f32_e32 v2, v2
	v_mul_lo_u32 v3, s1, v2
	s_delay_alu instid0(VALU_DEP_1) | instskip(NEXT) | instid1(VALU_DEP_1)
	v_mul_hi_u32 v3, v2, v3
	v_add_nc_u32_e32 v2, v2, v3
	s_delay_alu instid0(VALU_DEP_1) | instskip(NEXT) | instid1(VALU_DEP_1)
	v_mul_hi_u32 v2, v0, v2
	v_mul_lo_u32 v2, v2, s8
	s_delay_alu instid0(VALU_DEP_1) | instskip(NEXT) | instid1(VALU_DEP_1)
	v_sub_nc_u32_e32 v2, v0, v2
	v_subrev_nc_u32_e32 v3, s8, v2
	v_cmp_le_u32_e32 vcc_lo, s8, v2
	s_delay_alu instid0(VALU_DEP_2) | instskip(NEXT) | instid1(VALU_DEP_1)
	v_cndmask_b32_e32 v2, v2, v3, vcc_lo
	v_subrev_nc_u32_e32 v3, s8, v2
	v_cmp_le_u32_e32 vcc_lo, s8, v2
	s_delay_alu instid0(VALU_DEP_2)
	v_dual_cndmask_b32 v2, v2, v3 :: v_dual_mov_b32 v3, 0
.LBB90_5:
	s_or_b32 exec_lo, exec_lo, s0
	s_delay_alu instid0(VALU_DEP_1) | instskip(SKIP_1) | instid1(VALU_DEP_1)
	v_dual_mov_b32 v4, 0 :: v_dual_bitop2_b32 v5, s11, v3 bitop3:0x54
                                        ; implicit-def: $vgpr6_vgpr7
	s_mov_b32 s0, exec_lo
	v_cmpx_ne_u64_e32 0, v[4:5]
	s_xor_b32 s1, exec_lo, s0
	s_cbranch_execz .LBB90_7
; %bb.6:
	s_cvt_f32_u32 s0, s10
	s_cvt_f32_u32 s2, s11
	s_sub_nc_u64 s[6:7], 0, s[10:11]
	s_mov_b32 s13, 0
	v_dual_mov_b32 v6, v2 :: v_dual_mov_b32 v7, v4
	s_fmamk_f32 s0, s2, 0x4f800000, s0
	v_dual_mov_b32 v8, v3 :: v_dual_mov_b32 v9, v4
	v_dual_mov_b32 v13, v4 :: v_dual_mov_b32 v5, v4
	s_delay_alu instid0(SALU_CYCLE_1) | instskip(NEXT) | instid1(TRANS32_DEP_1)
	v_s_rcp_f32 s0, s0
	s_mul_f32 s0, s0, 0x5f7ffffc
	s_delay_alu instid0(SALU_CYCLE_3) | instskip(NEXT) | instid1(SALU_CYCLE_3)
	s_mul_f32 s2, s0, 0x2f800000
	s_trunc_f32 s2, s2
	s_delay_alu instid0(SALU_CYCLE_3) | instskip(SKIP_1) | instid1(SALU_CYCLE_2)
	s_fmamk_f32 s0, s2, 0xcf800000, s0
	s_cvt_u32_f32 s3, s2
	s_cvt_u32_f32 s2, s0
	s_delay_alu instid0(SALU_CYCLE_3) | instskip(NEXT) | instid1(SALU_CYCLE_1)
	s_mul_u64 s[8:9], s[6:7], s[2:3]
	s_mul_hi_u32 s15, s2, s9
	s_mul_i32 s14, s2, s9
	s_mul_hi_u32 s12, s2, s8
	s_mul_i32 s16, s3, s8
	s_add_nc_u64 s[14:15], s[12:13], s[14:15]
	s_mul_hi_u32 s0, s3, s8
	s_mul_hi_u32 s17, s3, s9
	s_mul_i32 s8, s3, s9
	s_add_co_u32 s9, s14, s16
	s_add_co_ci_u32 s12, s15, s0
	s_add_co_ci_u32 s9, s17, 0
	s_delay_alu instid0(SALU_CYCLE_1) | instskip(NEXT) | instid1(SALU_CYCLE_1)
	s_add_nc_u64 s[8:9], s[12:13], s[8:9]
	s_add_co_u32 s2, s2, s8
	s_cselect_b32 s0, -1, 0
	s_delay_alu instid0(SALU_CYCLE_1) | instskip(SKIP_1) | instid1(SALU_CYCLE_1)
	s_cmp_lg_u32 s0, 0
	s_add_co_ci_u32 s3, s3, s9
	s_mul_u64 s[6:7], s[6:7], s[2:3]
	s_delay_alu instid0(SALU_CYCLE_1)
	s_mul_hi_u32 s9, s2, s7
	s_mul_i32 s8, s2, s7
	s_mul_hi_u32 s12, s2, s6
	s_mul_i32 s14, s3, s6
	s_add_nc_u64 s[8:9], s[12:13], s[8:9]
	s_mul_hi_u32 s0, s3, s6
	s_mul_hi_u32 s15, s3, s7
	s_mul_i32 s6, s3, s7
	s_add_co_u32 s7, s8, s14
	s_add_co_ci_u32 s12, s9, s0
	s_add_co_ci_u32 s7, s15, 0
	s_delay_alu instid0(SALU_CYCLE_1) | instskip(NEXT) | instid1(SALU_CYCLE_1)
	s_add_nc_u64 s[6:7], s[12:13], s[6:7]
	s_add_co_u32 s0, s2, s6
	s_cselect_b32 s2, -1, 0
	v_nop
	v_mul_hi_u32 v12, v2, s0
	s_cmp_lg_u32 s2, 0
	s_add_co_ci_u32 s12, s3, s7
	s_mov_b64 s[2:3], 0xffffffff
	v_mul_u64_e32 v[6:7], s[12:13], v[6:7]
	s_and_b64 s[2:3], s[0:1], s[2:3]
	s_delay_alu instid0(SALU_CYCLE_1) | instskip(SKIP_1) | instid1(VALU_DEP_3)
	v_mul_u64_e32 v[10:11], s[2:3], v[8:9]
	v_mul_u64_e32 v[8:9], s[12:13], v[8:9]
	v_add_nc_u64_e32 v[6:7], v[12:13], v[6:7]
	s_delay_alu instid0(VALU_DEP_1) | instskip(NEXT) | instid1(VALU_DEP_2)
	v_add_co_u32 v4, vcc_lo, v6, v10
	v_add_co_ci_u32_e32 v4, vcc_lo, v7, v11, vcc_lo
	s_delay_alu instid0(VALU_DEP_4) | instskip(NEXT) | instid1(VALU_DEP_1)
	v_add_co_ci_u32_e32 v9, vcc_lo, 0, v9, vcc_lo
	v_add_nc_u64_e32 v[4:5], v[4:5], v[8:9]
	s_delay_alu instid0(VALU_DEP_1) | instskip(SKIP_1) | instid1(VALU_DEP_2)
	v_mul_u64_e32 v[6:7], s[10:11], v[4:5]
	v_add_nc_u64_e32 v[8:9], 2, v[4:5]
	v_sub_nc_u32_e32 v10, v3, v7
	s_delay_alu instid0(VALU_DEP_3) | instskip(NEXT) | instid1(VALU_DEP_1)
	v_sub_co_u32 v6, vcc_lo, v2, v6
	v_sub_co_ci_u32_e64 v3, null, v3, v7, vcc_lo
	s_delay_alu instid0(VALU_DEP_3) | instskip(SKIP_1) | instid1(VALU_DEP_4)
	v_subrev_co_ci_u32_e64 v9, null, s11, v10, vcc_lo
	v_add_nc_u64_e32 v[10:11], 1, v[4:5]
	v_sub_co_u32 v5, s0, v6, s10
	s_delay_alu instid0(VALU_DEP_1) | instskip(NEXT) | instid1(VALU_DEP_2)
	v_subrev_co_ci_u32_e64 v9, null, 0, v9, s0
	v_cmp_le_u32_e32 vcc_lo, s10, v5
	v_cndmask_b32_e64 v5, 0, -1, vcc_lo
	s_delay_alu instid0(VALU_DEP_3)
	v_cmp_le_u32_e32 vcc_lo, s11, v9
	v_cndmask_b32_e64 v7, 0, -1, vcc_lo
	v_cmp_le_u32_e32 vcc_lo, s10, v6
	v_cndmask_b32_e64 v6, 0, -1, vcc_lo
	;; [unrolled: 2-line block ×3, first 2 shown]
	v_cmp_eq_u32_e32 vcc_lo, s11, v9
	v_cndmask_b32_e32 v5, v7, v5, vcc_lo
	v_cmp_eq_u32_e32 vcc_lo, s11, v3
	s_delay_alu instid0(VALU_DEP_4) | instskip(NEXT) | instid1(VALU_DEP_3)
	v_cndmask_b32_e32 v3, v11, v6, vcc_lo
	v_cmp_ne_u32_e32 vcc_lo, 0, v5
	v_cndmask_b32_e32 v5, v10, v8, vcc_lo
	s_delay_alu instid0(VALU_DEP_3) | instskip(NEXT) | instid1(VALU_DEP_2)
	v_cmp_ne_u32_e32 vcc_lo, 0, v3
	v_cndmask_b32_e32 v6, v4, v5, vcc_lo
.LBB90_7:
	s_and_not1_saveexec_b32 s0, s1
	s_cbranch_execz .LBB90_9
; %bb.8:
	v_cvt_f32_u32_e32 v3, s10
	s_sub_co_i32 s1, 0, s10
	s_delay_alu instid0(VALU_DEP_1) | instskip(SKIP_1) | instid1(TRANS32_DEP_1)
	v_rcp_iflag_f32_e32 v3, v3
	v_nop
	v_mul_f32_e32 v3, 0x4f7ffffe, v3
	s_delay_alu instid0(VALU_DEP_1) | instskip(NEXT) | instid1(VALU_DEP_1)
	v_cvt_u32_f32_e32 v3, v3
	v_mul_lo_u32 v4, s1, v3
	s_delay_alu instid0(VALU_DEP_1) | instskip(NEXT) | instid1(VALU_DEP_1)
	v_mul_hi_u32 v4, v3, v4
	v_add_nc_u32_e32 v3, v3, v4
	s_delay_alu instid0(VALU_DEP_1) | instskip(NEXT) | instid1(VALU_DEP_1)
	v_mul_hi_u32 v3, v2, v3
	v_mul_lo_u32 v4, v3, s10
	s_delay_alu instid0(VALU_DEP_1) | instskip(NEXT) | instid1(VALU_DEP_1)
	v_dual_add_nc_u32 v5, 1, v3 :: v_dual_sub_nc_u32 v4, v2, v4
	v_subrev_nc_u32_e32 v6, s10, v4
	v_cmp_le_u32_e32 vcc_lo, s10, v4
	s_delay_alu instid0(VALU_DEP_2) | instskip(NEXT) | instid1(VALU_DEP_1)
	v_dual_cndmask_b32 v4, v4, v6 :: v_dual_cndmask_b32 v3, v3, v5
	v_cmp_le_u32_e32 vcc_lo, s10, v4
	s_delay_alu instid0(VALU_DEP_2) | instskip(NEXT) | instid1(VALU_DEP_1)
	v_add_nc_u32_e32 v5, 1, v3
	v_cndmask_b32_e32 v6, v3, v5, vcc_lo
.LBB90_9:
	s_or_b32 exec_lo, exec_lo, s0
	s_mov_b32 s0, 0x19660d
	s_delay_alu instid0(SALU_CYCLE_1) | instskip(NEXT) | instid1(VALU_DEP_1)
	v_mad_nc_u64_u32 v[4:5], v0, s0, 0x3c6ef35f
	v_mad_u32 v5, 0x19660d, v1, v5
	v_lshl_add_u64 v[0:1], v[0:1], 2, s[4:5]
	s_delay_alu instid0(VALU_DEP_2) | instskip(NEXT) | instid1(VALU_DEP_1)
	v_lshlrev_b64_e32 v[8:9], 13, v[4:5]
	v_xor_b32_e32 v5, v9, v5
	s_delay_alu instid0(VALU_DEP_2) | instskip(NEXT) | instid1(VALU_DEP_1)
	v_xor_b32_e32 v4, v8, v4
	v_lshrrev_b64 v[8:9], 17, v[4:5]
	s_delay_alu instid0(VALU_DEP_1) | instskip(NEXT) | instid1(VALU_DEP_2)
	v_xor_b32_e32 v5, v9, v5
	v_xor_b32_e32 v4, v8, v4
	s_delay_alu instid0(VALU_DEP_1) | instskip(NEXT) | instid1(VALU_DEP_1)
	v_lshlrev_b64_e32 v[8:9], 5, v[4:5]
	v_xor_b32_e32 v5, v9, v5
	s_delay_alu instid0(VALU_DEP_2) | instskip(NEXT) | instid1(VALU_DEP_1)
	v_xor_b32_e32 v4, v8, v4
	v_lshlrev_b64_e32 v[8:9], 13, v[4:5]
	s_delay_alu instid0(VALU_DEP_1) | instskip(NEXT) | instid1(VALU_DEP_2)
	v_xor_b32_e32 v5, v9, v5
	v_xor_b32_e32 v4, v8, v4
	s_delay_alu instid0(VALU_DEP_1) | instskip(NEXT) | instid1(VALU_DEP_1)
	v_lshrrev_b64 v[8:9], 17, v[4:5]
	v_xor_b32_e32 v5, v9, v5
	s_delay_alu instid0(VALU_DEP_2) | instskip(NEXT) | instid1(VALU_DEP_1)
	v_xor_b32_e32 v4, v8, v4
	v_lshlrev_b64_e32 v[8:9], 5, v[4:5]
	s_delay_alu instid0(VALU_DEP_1) | instskip(NEXT) | instid1(VALU_DEP_2)
	v_xor_b32_e32 v5, v9, v5
	v_xor_b32_e32 v4, v8, v4
	s_delay_alu instid0(VALU_DEP_1) | instskip(NEXT) | instid1(VALU_DEP_1)
	v_lshlrev_b64_e32 v[8:9], 13, v[4:5]
	v_xor_b32_e32 v3, v9, v5
	s_delay_alu instid0(VALU_DEP_2) | instskip(SKIP_1) | instid1(VALU_DEP_2)
	v_xor_b32_e32 v4, v8, v4
	v_mul_lo_u32 v5, v6, s10
	v_alignbit_b32 v3, v3, v4, 17
	s_delay_alu instid0(VALU_DEP_1) | instskip(NEXT) | instid1(VALU_DEP_1)
	v_dual_sub_nc_u32 v2, v2, v5 :: v_dual_bitop2_b32 v3, v3, v4 bitop3:0x14
	v_lshlrev_b32_e32 v4, 5, v3
	s_delay_alu instid0(VALU_DEP_2) | instskip(NEXT) | instid1(VALU_DEP_2)
	v_bitop3_b32 v2, v2, 1, v6 bitop3:0x48
	v_xor_b32_e32 v3, v4, v3
	s_delay_alu instid0(VALU_DEP_2) | instskip(NEXT) | instid1(VALU_DEP_2)
	v_cmp_eq_u32_e32 vcc_lo, 0, v2
	v_mul_hi_u32 v4, 0xcccccccd, v3
	s_delay_alu instid0(VALU_DEP_1) | instskip(NEXT) | instid1(VALU_DEP_1)
	v_lshrrev_b32_e32 v4, 3, v4
	v_mul_lo_u32 v4, v4, 10
	s_delay_alu instid0(VALU_DEP_1) | instskip(NEXT) | instid1(VALU_DEP_1)
	v_sub_nc_u32_e32 v3, v3, v4
	v_add_nc_u32_e32 v4, 1, v3
	v_not_b32_e32 v3, v3
	s_delay_alu instid0(VALU_DEP_1)
	v_cndmask_b32_e32 v2, v4, v3, vcc_lo
	global_store_b32 v[0:1], v2, off
.LBB90_10:
	s_endpgm
	.section	.rodata,"a",@progbits
	.p2align	6, 0x0
	.amdhsa_kernel _Z11fill_kernelIiZ21hipblaslt_init_deviceIiEv8ABC_dims24hipblaslt_initializationbPT_mmmmmEUlmE1_EvS4_mmT0_
		.amdhsa_group_segment_fixed_size 0
		.amdhsa_private_segment_fixed_size 0
		.amdhsa_kernarg_size 296
		.amdhsa_user_sgpr_count 2
		.amdhsa_user_sgpr_dispatch_ptr 0
		.amdhsa_user_sgpr_queue_ptr 0
		.amdhsa_user_sgpr_kernarg_segment_ptr 1
		.amdhsa_user_sgpr_dispatch_id 0
		.amdhsa_user_sgpr_kernarg_preload_length 0
		.amdhsa_user_sgpr_kernarg_preload_offset 0
		.amdhsa_user_sgpr_private_segment_size 0
		.amdhsa_wavefront_size32 1
		.amdhsa_uses_dynamic_stack 0
		.amdhsa_enable_private_segment 0
		.amdhsa_system_sgpr_workgroup_id_x 1
		.amdhsa_system_sgpr_workgroup_id_y 0
		.amdhsa_system_sgpr_workgroup_id_z 0
		.amdhsa_system_sgpr_workgroup_info 0
		.amdhsa_system_vgpr_workitem_id 0
		.amdhsa_next_free_vgpr 14
		.amdhsa_next_free_sgpr 20
		.amdhsa_named_barrier_count 0
		.amdhsa_reserve_vcc 1
		.amdhsa_float_round_mode_32 0
		.amdhsa_float_round_mode_16_64 0
		.amdhsa_float_denorm_mode_32 3
		.amdhsa_float_denorm_mode_16_64 3
		.amdhsa_fp16_overflow 0
		.amdhsa_memory_ordered 1
		.amdhsa_forward_progress 1
		.amdhsa_inst_pref_size 15
		.amdhsa_round_robin_scheduling 0
		.amdhsa_exception_fp_ieee_invalid_op 0
		.amdhsa_exception_fp_denorm_src 0
		.amdhsa_exception_fp_ieee_div_zero 0
		.amdhsa_exception_fp_ieee_overflow 0
		.amdhsa_exception_fp_ieee_underflow 0
		.amdhsa_exception_fp_ieee_inexact 0
		.amdhsa_exception_int_div_zero 0
	.end_amdhsa_kernel
	.section	.text._Z11fill_kernelIiZ21hipblaslt_init_deviceIiEv8ABC_dims24hipblaslt_initializationbPT_mmmmmEUlmE1_EvS4_mmT0_,"axG",@progbits,_Z11fill_kernelIiZ21hipblaslt_init_deviceIiEv8ABC_dims24hipblaslt_initializationbPT_mmmmmEUlmE1_EvS4_mmT0_,comdat
.Lfunc_end90:
	.size	_Z11fill_kernelIiZ21hipblaslt_init_deviceIiEv8ABC_dims24hipblaslt_initializationbPT_mmmmmEUlmE1_EvS4_mmT0_, .Lfunc_end90-_Z11fill_kernelIiZ21hipblaslt_init_deviceIiEv8ABC_dims24hipblaslt_initializationbPT_mmmmmEUlmE1_EvS4_mmT0_
                                        ; -- End function
	.set _Z11fill_kernelIiZ21hipblaslt_init_deviceIiEv8ABC_dims24hipblaslt_initializationbPT_mmmmmEUlmE1_EvS4_mmT0_.num_vgpr, 14
	.set _Z11fill_kernelIiZ21hipblaslt_init_deviceIiEv8ABC_dims24hipblaslt_initializationbPT_mmmmmEUlmE1_EvS4_mmT0_.num_agpr, 0
	.set _Z11fill_kernelIiZ21hipblaslt_init_deviceIiEv8ABC_dims24hipblaslt_initializationbPT_mmmmmEUlmE1_EvS4_mmT0_.numbered_sgpr, 20
	.set _Z11fill_kernelIiZ21hipblaslt_init_deviceIiEv8ABC_dims24hipblaslt_initializationbPT_mmmmmEUlmE1_EvS4_mmT0_.num_named_barrier, 0
	.set _Z11fill_kernelIiZ21hipblaslt_init_deviceIiEv8ABC_dims24hipblaslt_initializationbPT_mmmmmEUlmE1_EvS4_mmT0_.private_seg_size, 0
	.set _Z11fill_kernelIiZ21hipblaslt_init_deviceIiEv8ABC_dims24hipblaslt_initializationbPT_mmmmmEUlmE1_EvS4_mmT0_.uses_vcc, 1
	.set _Z11fill_kernelIiZ21hipblaslt_init_deviceIiEv8ABC_dims24hipblaslt_initializationbPT_mmmmmEUlmE1_EvS4_mmT0_.uses_flat_scratch, 0
	.set _Z11fill_kernelIiZ21hipblaslt_init_deviceIiEv8ABC_dims24hipblaslt_initializationbPT_mmmmmEUlmE1_EvS4_mmT0_.has_dyn_sized_stack, 0
	.set _Z11fill_kernelIiZ21hipblaslt_init_deviceIiEv8ABC_dims24hipblaslt_initializationbPT_mmmmmEUlmE1_EvS4_mmT0_.has_recursion, 0
	.set _Z11fill_kernelIiZ21hipblaslt_init_deviceIiEv8ABC_dims24hipblaslt_initializationbPT_mmmmmEUlmE1_EvS4_mmT0_.has_indirect_call, 0
	.section	.AMDGPU.csdata,"",@progbits
; Kernel info:
; codeLenInByte = 1812
; TotalNumSgprs: 22
; NumVgprs: 14
; ScratchSize: 0
; MemoryBound: 0
; FloatMode: 240
; IeeeMode: 1
; LDSByteSize: 0 bytes/workgroup (compile time only)
; SGPRBlocks: 0
; VGPRBlocks: 0
; NumSGPRsForWavesPerEU: 22
; NumVGPRsForWavesPerEU: 14
; NamedBarCnt: 0
; Occupancy: 16
; WaveLimiterHint : 0
; COMPUTE_PGM_RSRC2:SCRATCH_EN: 0
; COMPUTE_PGM_RSRC2:USER_SGPR: 2
; COMPUTE_PGM_RSRC2:TRAP_HANDLER: 0
; COMPUTE_PGM_RSRC2:TGID_X_EN: 1
; COMPUTE_PGM_RSRC2:TGID_Y_EN: 0
; COMPUTE_PGM_RSRC2:TGID_Z_EN: 0
; COMPUTE_PGM_RSRC2:TIDIG_COMP_CNT: 0
	.section	.text._Z11fill_kernelIiZ21hipblaslt_init_deviceIiEv8ABC_dims24hipblaslt_initializationbPT_mmmmmEUlmE2_EvS4_mmT0_,"axG",@progbits,_Z11fill_kernelIiZ21hipblaslt_init_deviceIiEv8ABC_dims24hipblaslt_initializationbPT_mmmmmEUlmE2_EvS4_mmT0_,comdat
	.protected	_Z11fill_kernelIiZ21hipblaslt_init_deviceIiEv8ABC_dims24hipblaslt_initializationbPT_mmmmmEUlmE2_EvS4_mmT0_ ; -- Begin function _Z11fill_kernelIiZ21hipblaslt_init_deviceIiEv8ABC_dims24hipblaslt_initializationbPT_mmmmmEUlmE2_EvS4_mmT0_
	.globl	_Z11fill_kernelIiZ21hipblaslt_init_deviceIiEv8ABC_dims24hipblaslt_initializationbPT_mmmmmEUlmE2_EvS4_mmT0_
	.p2align	8
	.type	_Z11fill_kernelIiZ21hipblaslt_init_deviceIiEv8ABC_dims24hipblaslt_initializationbPT_mmmmmEUlmE2_EvS4_mmT0_,@function
_Z11fill_kernelIiZ21hipblaslt_init_deviceIiEv8ABC_dims24hipblaslt_initializationbPT_mmmmmEUlmE2_EvS4_mmT0_: ; @_Z11fill_kernelIiZ21hipblaslt_init_deviceIiEv8ABC_dims24hipblaslt_initializationbPT_mmmmmEUlmE2_EvS4_mmT0_
; %bb.0:
	s_clause 0x1
	s_load_b32 s2, s[0:1], 0x44
	s_load_b128 s[12:15], s[0:1], 0x0
	s_bfe_u32 s3, ttmp6, 0x4000c
	s_and_b32 s4, ttmp6, 15
	s_add_co_i32 s3, s3, 1
	s_getreg_b32 s5, hwreg(HW_REG_IB_STS2, 6, 4)
	s_mul_i32 s3, ttmp9, s3
	v_mov_b32_e32 v3, 0
	s_add_co_i32 s4, s4, s3
	s_wait_kmcnt 0x0
	s_and_b32 s2, s2, 0xffff
	s_cmp_eq_u32 s5, 0
	s_cselect_b32 s3, ttmp9, s4
	s_delay_alu instid0(SALU_CYCLE_1) | instskip(SKIP_1) | instid1(VALU_DEP_1)
	v_mad_u32 v2, s3, s2, v0
	s_mov_b32 s2, exec_lo
	v_cmpx_gt_u64_e64 s[14:15], v[2:3]
	s_cbranch_execz .LBB91_14
; %bb.1:
	s_clause 0x1
	s_load_b64 s[2:3], s[0:1], 0x10
	s_load_b256 s[4:11], s[0:1], 0x18
	s_wait_xcnt 0x0
	s_mov_b32 s0, exec_lo
	v_mov_b32_e32 v4, v3
	s_wait_kmcnt 0x0
	v_add_nc_u64_e32 v[0:1], s[2:3], v[2:3]
                                        ; implicit-def: $vgpr2_vgpr3
	s_delay_alu instid0(VALU_DEP_1) | instskip(NEXT) | instid1(VALU_DEP_1)
	v_or_b32_e32 v5, s9, v1
	v_cmpx_ne_u64_e32 0, v[4:5]
	s_xor_b32 s1, exec_lo, s0
	s_cbranch_execz .LBB91_3
; %bb.2:
	s_cvt_f32_u32 s0, s8
	s_cvt_f32_u32 s2, s9
	s_sub_nc_u64 s[14:15], 0, s[8:9]
	s_mov_b32 s19, 0
	v_dual_mov_b32 v3, 0 :: v_dual_mov_b32 v2, v0
	s_fmamk_f32 s0, s2, 0x4f800000, s0
	s_delay_alu instid0(SALU_CYCLE_3) | instskip(NEXT) | instid1(TRANS32_DEP_1)
	v_s_rcp_f32 s0, s0
	s_mul_f32 s0, s0, 0x5f7ffffc
	s_delay_alu instid0(SALU_CYCLE_3) | instskip(NEXT) | instid1(SALU_CYCLE_3)
	s_mul_f32 s2, s0, 0x2f800000
	s_trunc_f32 s2, s2
	s_delay_alu instid0(SALU_CYCLE_3) | instskip(SKIP_1) | instid1(SALU_CYCLE_2)
	s_fmamk_f32 s0, s2, 0xcf800000, s0
	s_cvt_u32_f32 s3, s2
	s_cvt_u32_f32 s2, s0
	s_delay_alu instid0(SALU_CYCLE_3) | instskip(NEXT) | instid1(SALU_CYCLE_1)
	s_mul_u64 s[16:17], s[14:15], s[2:3]
	s_mul_hi_u32 s21, s2, s17
	s_mul_i32 s20, s2, s17
	s_mul_hi_u32 s18, s2, s16
	s_mul_i32 s22, s3, s16
	s_add_nc_u64 s[20:21], s[18:19], s[20:21]
	s_mul_hi_u32 s0, s3, s16
	s_mul_hi_u32 s23, s3, s17
	s_mul_i32 s16, s3, s17
	s_add_co_u32 s17, s20, s22
	s_add_co_ci_u32 s18, s21, s0
	s_add_co_ci_u32 s17, s23, 0
	s_delay_alu instid0(SALU_CYCLE_1) | instskip(NEXT) | instid1(SALU_CYCLE_1)
	s_add_nc_u64 s[16:17], s[18:19], s[16:17]
	s_add_co_u32 s2, s2, s16
	s_cselect_b32 s0, -1, 0
	s_delay_alu instid0(SALU_CYCLE_1) | instskip(SKIP_1) | instid1(SALU_CYCLE_1)
	s_cmp_lg_u32 s0, 0
	s_add_co_ci_u32 s3, s3, s17
	s_mul_u64 s[14:15], s[14:15], s[2:3]
	s_delay_alu instid0(SALU_CYCLE_1)
	s_mul_hi_u32 s17, s2, s15
	s_mul_i32 s16, s2, s15
	s_mul_hi_u32 s18, s2, s14
	s_mul_i32 s20, s3, s14
	s_add_nc_u64 s[16:17], s[18:19], s[16:17]
	s_mul_hi_u32 s0, s3, s14
	s_mul_hi_u32 s21, s3, s15
	s_mul_i32 s14, s3, s15
	s_add_co_u32 s15, s16, s20
	s_add_co_ci_u32 s18, s17, s0
	s_add_co_ci_u32 s15, s21, 0
	s_delay_alu instid0(SALU_CYCLE_1) | instskip(NEXT) | instid1(SALU_CYCLE_1)
	s_add_nc_u64 s[14:15], s[18:19], s[14:15]
	s_add_co_u32 s0, s2, s14
	s_cselect_b32 s2, -1, 0
	s_delay_alu instid0(SALU_CYCLE_1)
	s_cmp_lg_u32 s2, 0
	s_add_co_ci_u32 s18, s3, s15
	s_mov_b64 s[2:3], 0xffffffff
	v_mul_u64_e32 v[4:5], s[18:19], v[2:3]
	v_mul_hi_u32 v2, v0, s0
	s_and_b64 s[2:3], s[0:1], s[2:3]
	s_delay_alu instid0(VALU_DEP_1) | instskip(SKIP_1) | instid1(VALU_DEP_1)
	v_add_nc_u64_e32 v[4:5], v[2:3], v[4:5]
	v_mov_b32_e32 v2, v1
	v_mul_u64_e32 v[6:7], s[2:3], v[2:3]
	v_mul_u64_e32 v[8:9], s[18:19], v[2:3]
	s_delay_alu instid0(VALU_DEP_2) | instskip(NEXT) | instid1(VALU_DEP_3)
	v_add_co_u32 v2, vcc_lo, v4, v6
	v_add_co_ci_u32_e32 v2, vcc_lo, v5, v7, vcc_lo
	s_delay_alu instid0(VALU_DEP_3) | instskip(NEXT) | instid1(VALU_DEP_1)
	v_add_co_ci_u32_e32 v9, vcc_lo, 0, v9, vcc_lo
	v_add_nc_u64_e32 v[2:3], v[2:3], v[8:9]
	s_delay_alu instid0(VALU_DEP_1) | instskip(NEXT) | instid1(VALU_DEP_1)
	v_mul_u64_e32 v[4:5], s[8:9], v[2:3]
	v_sub_nc_u32_e32 v6, v1, v5
	s_delay_alu instid0(VALU_DEP_2) | instskip(NEXT) | instid1(VALU_DEP_1)
	v_sub_co_u32 v4, vcc_lo, v0, v4
	v_sub_co_ci_u32_e64 v11, null, v1, v5, vcc_lo
	s_delay_alu instid0(VALU_DEP_3) | instskip(NEXT) | instid1(VALU_DEP_3)
	v_subrev_co_ci_u32_e64 v6, null, s9, v6, vcc_lo
	v_sub_co_u32 v8, s0, v4, s8
	v_cmp_le_u32_e32 vcc_lo, s8, v4
	s_delay_alu instid0(VALU_DEP_3) | instskip(NEXT) | instid1(VALU_DEP_3)
	v_subrev_co_ci_u32_e64 v9, null, 0, v6, s0
	v_cmp_le_u32_e64 s0, s8, v8
	v_add_nc_u64_e32 v[6:7], 2, v[2:3]
	v_cndmask_b32_e64 v12, 0, -1, vcc_lo
	s_delay_alu instid0(VALU_DEP_4) | instskip(SKIP_3) | instid1(VALU_DEP_1)
	v_cmp_eq_u32_e32 vcc_lo, s9, v9
	v_add_nc_u64_e32 v[4:5], 1, v[2:3]
	v_cndmask_b32_e64 v8, 0, -1, s0
	v_cmp_le_u32_e64 s0, s9, v9
	v_cndmask_b32_e64 v10, 0, -1, s0
	v_cmp_eq_u32_e64 s0, s9, v11
	s_delay_alu instid0(VALU_DEP_2) | instskip(SKIP_2) | instid1(VALU_DEP_3)
	v_cndmask_b32_e32 v8, v10, v8, vcc_lo
	v_cmp_le_u32_e32 vcc_lo, s9, v11
	v_cndmask_b32_e64 v9, 0, -1, vcc_lo
	v_cmp_ne_u32_e32 vcc_lo, 0, v8
	s_delay_alu instid0(VALU_DEP_2) | instskip(SKIP_1) | instid1(VALU_DEP_2)
	v_dual_cndmask_b32 v8, v9, v12, s0 :: v_dual_cndmask_b32 v4, v4, v6, vcc_lo
	v_cndmask_b32_e32 v5, v5, v7, vcc_lo
	v_cmp_ne_u32_e32 vcc_lo, 0, v8
	s_delay_alu instid0(VALU_DEP_2)
	v_dual_cndmask_b32 v3, v3, v5 :: v_dual_cndmask_b32 v2, v2, v4
.LBB91_3:
	s_and_not1_saveexec_b32 s0, s1
	s_cbranch_execz .LBB91_5
; %bb.4:
	v_cvt_f32_u32_e32 v2, s8
	s_sub_co_i32 s1, 0, s8
	s_delay_alu instid0(VALU_DEP_1) | instskip(SKIP_1) | instid1(TRANS32_DEP_1)
	v_rcp_iflag_f32_e32 v2, v2
	v_nop
	v_mul_f32_e32 v2, 0x4f7ffffe, v2
	s_delay_alu instid0(VALU_DEP_1) | instskip(NEXT) | instid1(VALU_DEP_1)
	v_cvt_u32_f32_e32 v2, v2
	v_mul_lo_u32 v3, s1, v2
	s_delay_alu instid0(VALU_DEP_1) | instskip(NEXT) | instid1(VALU_DEP_1)
	v_mul_hi_u32 v3, v2, v3
	v_add_nc_u32_e32 v2, v2, v3
	s_delay_alu instid0(VALU_DEP_1) | instskip(NEXT) | instid1(VALU_DEP_1)
	v_mul_hi_u32 v2, v0, v2
	v_mul_lo_u32 v3, v2, s8
	s_delay_alu instid0(VALU_DEP_1) | instskip(NEXT) | instid1(VALU_DEP_1)
	v_dual_add_nc_u32 v4, 1, v2 :: v_dual_sub_nc_u32 v3, v0, v3
	v_subrev_nc_u32_e32 v5, s8, v3
	v_cmp_le_u32_e32 vcc_lo, s8, v3
	s_delay_alu instid0(VALU_DEP_2) | instskip(NEXT) | instid1(VALU_DEP_1)
	v_dual_cndmask_b32 v3, v3, v5 :: v_dual_cndmask_b32 v2, v2, v4
	v_cmp_le_u32_e32 vcc_lo, s8, v3
	s_delay_alu instid0(VALU_DEP_2) | instskip(NEXT) | instid1(VALU_DEP_1)
	v_dual_mov_b32 v3, 0 :: v_dual_add_nc_u32 v4, 1, v2
	v_cndmask_b32_e32 v2, v2, v4, vcc_lo
.LBB91_5:
	s_or_b32 exec_lo, exec_lo, s0
	s_delay_alu instid0(VALU_DEP_1) | instskip(SKIP_2) | instid1(VALU_DEP_2)
	v_mul_u64_e32 v[4:5], s[8:9], v[2:3]
                                        ; implicit-def: $vgpr8_vgpr9
	s_mov_b32 s0, exec_lo
	v_mov_b32_e32 v6, 0
	v_sub_nc_u64_e32 v[4:5], v[0:1], v[4:5]
	s_delay_alu instid0(VALU_DEP_1) | instskip(NEXT) | instid1(VALU_DEP_1)
	v_or_b32_e32 v7, s11, v5
	v_cmpx_ne_u64_e32 0, v[6:7]
	s_xor_b32 s1, exec_lo, s0
	s_cbranch_execz .LBB91_7
; %bb.6:
	s_cvt_f32_u32 s0, s10
	s_cvt_f32_u32 s2, s11
	s_sub_nc_u64 s[8:9], 0, s[10:11]
	s_mov_b32 s17, 0
	v_dual_mov_b32 v8, v4 :: v_dual_mov_b32 v9, v6
	s_fmamk_f32 s0, s2, 0x4f800000, s0
	v_dual_mov_b32 v10, v5 :: v_dual_mov_b32 v11, v6
	v_dual_mov_b32 v15, v6 :: v_dual_mov_b32 v7, v6
	s_delay_alu instid0(SALU_CYCLE_1) | instskip(NEXT) | instid1(TRANS32_DEP_1)
	v_s_rcp_f32 s0, s0
	s_mul_f32 s0, s0, 0x5f7ffffc
	s_delay_alu instid0(SALU_CYCLE_3) | instskip(NEXT) | instid1(SALU_CYCLE_3)
	s_mul_f32 s2, s0, 0x2f800000
	s_trunc_f32 s2, s2
	s_delay_alu instid0(SALU_CYCLE_3) | instskip(SKIP_1) | instid1(SALU_CYCLE_2)
	s_fmamk_f32 s0, s2, 0xcf800000, s0
	s_cvt_u32_f32 s3, s2
	s_cvt_u32_f32 s2, s0
	s_delay_alu instid0(SALU_CYCLE_3) | instskip(NEXT) | instid1(SALU_CYCLE_1)
	s_mul_u64 s[14:15], s[8:9], s[2:3]
	s_mul_hi_u32 s19, s2, s15
	s_mul_i32 s18, s2, s15
	s_mul_hi_u32 s16, s2, s14
	s_mul_i32 s20, s3, s14
	s_add_nc_u64 s[18:19], s[16:17], s[18:19]
	s_mul_hi_u32 s0, s3, s14
	s_mul_hi_u32 s21, s3, s15
	s_mul_i32 s14, s3, s15
	s_add_co_u32 s15, s18, s20
	s_add_co_ci_u32 s16, s19, s0
	s_add_co_ci_u32 s15, s21, 0
	s_delay_alu instid0(SALU_CYCLE_1) | instskip(NEXT) | instid1(SALU_CYCLE_1)
	s_add_nc_u64 s[14:15], s[16:17], s[14:15]
	s_add_co_u32 s2, s2, s14
	s_cselect_b32 s0, -1, 0
	s_delay_alu instid0(SALU_CYCLE_1) | instskip(SKIP_1) | instid1(SALU_CYCLE_1)
	s_cmp_lg_u32 s0, 0
	s_add_co_ci_u32 s3, s3, s15
	s_mul_u64 s[8:9], s[8:9], s[2:3]
	s_delay_alu instid0(SALU_CYCLE_1)
	s_mul_hi_u32 s15, s2, s9
	s_mul_i32 s14, s2, s9
	s_mul_hi_u32 s16, s2, s8
	s_mul_i32 s18, s3, s8
	s_add_nc_u64 s[14:15], s[16:17], s[14:15]
	s_mul_hi_u32 s0, s3, s8
	s_mul_hi_u32 s19, s3, s9
	s_mul_i32 s8, s3, s9
	s_add_co_u32 s9, s14, s18
	s_add_co_ci_u32 s16, s15, s0
	s_add_co_ci_u32 s9, s19, 0
	s_delay_alu instid0(SALU_CYCLE_1) | instskip(NEXT) | instid1(SALU_CYCLE_1)
	s_add_nc_u64 s[8:9], s[16:17], s[8:9]
	s_add_co_u32 s0, s2, s8
	s_cselect_b32 s2, -1, 0
	v_nop
	v_mul_hi_u32 v14, v4, s0
	s_cmp_lg_u32 s2, 0
	s_add_co_ci_u32 s16, s3, s9
	s_mov_b64 s[2:3], 0xffffffff
	v_mul_u64_e32 v[8:9], s[16:17], v[8:9]
	s_and_b64 s[2:3], s[0:1], s[2:3]
	s_delay_alu instid0(SALU_CYCLE_1) | instskip(SKIP_1) | instid1(VALU_DEP_3)
	v_mul_u64_e32 v[12:13], s[2:3], v[10:11]
	v_mul_u64_e32 v[10:11], s[16:17], v[10:11]
	v_add_nc_u64_e32 v[8:9], v[14:15], v[8:9]
	s_delay_alu instid0(VALU_DEP_1) | instskip(NEXT) | instid1(VALU_DEP_2)
	v_add_co_u32 v6, vcc_lo, v8, v12
	v_add_co_ci_u32_e32 v6, vcc_lo, v9, v13, vcc_lo
	s_delay_alu instid0(VALU_DEP_4) | instskip(NEXT) | instid1(VALU_DEP_1)
	v_add_co_ci_u32_e32 v11, vcc_lo, 0, v11, vcc_lo
	v_add_nc_u64_e32 v[6:7], v[6:7], v[10:11]
	s_delay_alu instid0(VALU_DEP_1) | instskip(NEXT) | instid1(VALU_DEP_1)
	v_mul_u64_e32 v[8:9], s[10:11], v[6:7]
	v_sub_nc_u32_e32 v10, v5, v9
	s_delay_alu instid0(VALU_DEP_2) | instskip(NEXT) | instid1(VALU_DEP_1)
	v_sub_co_u32 v8, vcc_lo, v4, v8
	v_sub_co_ci_u32_e64 v15, null, v5, v9, vcc_lo
	s_delay_alu instid0(VALU_DEP_3) | instskip(NEXT) | instid1(VALU_DEP_3)
	v_subrev_co_ci_u32_e64 v10, null, s11, v10, vcc_lo
	v_sub_co_u32 v12, s0, v8, s10
	v_cmp_le_u32_e32 vcc_lo, s10, v8
	s_delay_alu instid0(VALU_DEP_3) | instskip(NEXT) | instid1(VALU_DEP_3)
	v_subrev_co_ci_u32_e64 v13, null, 0, v10, s0
	v_cmp_le_u32_e64 s0, s10, v12
	v_add_nc_u64_e32 v[10:11], 2, v[6:7]
	v_cndmask_b32_e64 v16, 0, -1, vcc_lo
	s_delay_alu instid0(VALU_DEP_4) | instskip(SKIP_3) | instid1(VALU_DEP_1)
	v_cmp_eq_u32_e32 vcc_lo, s11, v13
	v_add_nc_u64_e32 v[8:9], 1, v[6:7]
	v_cndmask_b32_e64 v12, 0, -1, s0
	v_cmp_le_u32_e64 s0, s11, v13
	v_cndmask_b32_e64 v14, 0, -1, s0
	v_cmp_eq_u32_e64 s0, s11, v15
	s_delay_alu instid0(VALU_DEP_2) | instskip(SKIP_2) | instid1(VALU_DEP_3)
	v_cndmask_b32_e32 v12, v14, v12, vcc_lo
	v_cmp_le_u32_e32 vcc_lo, s11, v15
	v_cndmask_b32_e64 v13, 0, -1, vcc_lo
	v_cmp_ne_u32_e32 vcc_lo, 0, v12
	s_delay_alu instid0(VALU_DEP_2) | instskip(SKIP_1) | instid1(VALU_DEP_2)
	v_dual_cndmask_b32 v12, v13, v16, s0 :: v_dual_cndmask_b32 v8, v8, v10, vcc_lo
	v_cndmask_b32_e32 v9, v9, v11, vcc_lo
	v_cmp_ne_u32_e32 vcc_lo, 0, v12
	s_delay_alu instid0(VALU_DEP_2)
	v_dual_cndmask_b32 v8, v6, v8 :: v_dual_cndmask_b32 v9, v7, v9
.LBB91_7:
	s_and_not1_saveexec_b32 s0, s1
	s_cbranch_execz .LBB91_9
; %bb.8:
	v_cvt_f32_u32_e32 v6, s10
	s_sub_co_i32 s1, 0, s10
	s_delay_alu instid0(VALU_DEP_1) | instskip(SKIP_1) | instid1(TRANS32_DEP_1)
	v_rcp_iflag_f32_e32 v6, v6
	v_nop
	v_mul_f32_e32 v6, 0x4f7ffffe, v6
	s_delay_alu instid0(VALU_DEP_1) | instskip(NEXT) | instid1(VALU_DEP_1)
	v_cvt_u32_f32_e32 v6, v6
	v_mul_lo_u32 v7, s1, v6
	s_delay_alu instid0(VALU_DEP_1) | instskip(NEXT) | instid1(VALU_DEP_1)
	v_mul_hi_u32 v7, v6, v7
	v_add_nc_u32_e32 v6, v6, v7
	s_delay_alu instid0(VALU_DEP_1) | instskip(NEXT) | instid1(VALU_DEP_1)
	v_mul_hi_u32 v6, v4, v6
	v_mul_lo_u32 v7, v6, s10
	s_delay_alu instid0(VALU_DEP_1) | instskip(NEXT) | instid1(VALU_DEP_1)
	v_dual_add_nc_u32 v8, 1, v6 :: v_dual_sub_nc_u32 v7, v4, v7
	v_subrev_nc_u32_e32 v9, s10, v7
	v_cmp_le_u32_e32 vcc_lo, s10, v7
	s_delay_alu instid0(VALU_DEP_2) | instskip(NEXT) | instid1(VALU_DEP_4)
	v_dual_cndmask_b32 v7, v7, v9, vcc_lo :: v_dual_mov_b32 v9, 0
	v_cndmask_b32_e32 v6, v6, v8, vcc_lo
	s_delay_alu instid0(VALU_DEP_2) | instskip(NEXT) | instid1(VALU_DEP_2)
	v_cmp_le_u32_e32 vcc_lo, s10, v7
	v_add_nc_u32_e32 v8, 1, v6
	s_delay_alu instid0(VALU_DEP_1)
	v_cndmask_b32_e32 v8, v6, v8, vcc_lo
.LBB91_9:
	s_or_b32 exec_lo, exec_lo, s0
	s_delay_alu instid0(VALU_DEP_1) | instskip(SKIP_1) | instid1(VALU_DEP_1)
	v_mul_u64_e32 v[6:7], s[10:11], v[8:9]
	v_mad_nc_u64_u32 v[8:9], v2, s6, v[8:9]
	v_mad_u32 v3, v3, s6, v9
	s_delay_alu instid0(VALU_DEP_1) | instskip(NEXT) | instid1(VALU_DEP_4)
	v_mad_u32 v2, v2, s7, v3
	v_sub_nc_u64_e32 v[4:5], v[4:5], v[6:7]
	s_delay_alu instid0(VALU_DEP_1) | instskip(NEXT) | instid1(VALU_DEP_1)
	v_mad_nc_u64_u32 v[4:5], v8, s4, v[4:5]
	v_mad_u32 v2, v2, s4, v5
	s_delay_alu instid0(VALU_DEP_2) | instskip(NEXT) | instid1(VALU_DEP_2)
	v_cvt_f64_u32_e32 v[6:7], v4
	v_mad_u32 v5, v8, s5, v2
                                        ; implicit-def: $vgpr8
	s_delay_alu instid0(VALU_DEP_1) | instskip(SKIP_1) | instid1(VALU_DEP_2)
	v_cvt_f64_u32_e32 v[2:3], v5
	v_cmp_lt_u64_e32 vcc_lo, 0x3fffffff, v[4:5]
                                        ; implicit-def: $vgpr4_vgpr5
	v_ldexp_f64 v[2:3], v[2:3], 32
	s_delay_alu instid0(VALU_DEP_1) | instskip(SKIP_1) | instid1(SALU_CYCLE_1)
	v_add_f64_e32 v[2:3], v[2:3], v[6:7]
                                        ; implicit-def: $vgpr6_vgpr7
	s_and_saveexec_b32 s0, vcc_lo
	s_xor_b32 s0, exec_lo, s0
	s_cbranch_execz .LBB91_11
; %bb.10:
	s_delay_alu instid0(VALU_DEP_1) | instskip(SKIP_3) | instid1(VALU_DEP_3)
	v_trig_preop_f64 v[4:5], v[2:3], 0
	v_trig_preop_f64 v[6:7], v[2:3], 1
	v_trig_preop_f64 v[16:17], v[2:3], 2
	s_mov_b64 s[2:3], 0x3ff921fb54442d18
	v_dual_mul_f64 v[8:9], v[4:5], v[2:3] :: v_dual_mov_b32 v24, 0
	s_delay_alu instid0(VALU_DEP_3) | instskip(NEXT) | instid1(VALU_DEP_3)
	v_mul_f64_e32 v[10:11], v[6:7], v[2:3]
	v_mul_f64_e32 v[22:23], v[16:17], v[2:3]
	s_delay_alu instid0(VALU_DEP_3) | instskip(NEXT) | instid1(VALU_DEP_3)
	v_fma_f64 v[4:5], v[4:5], v[2:3], -v[8:9]
	v_fma_f64 v[6:7], v[6:7], v[2:3], -v[10:11]
	s_delay_alu instid0(VALU_DEP_3) | instskip(NEXT) | instid1(VALU_DEP_3)
	v_fma_f64 v[16:17], v[16:17], v[2:3], -v[22:23]
	v_add_f64_e32 v[12:13], v[10:11], v[4:5]
	s_delay_alu instid0(VALU_DEP_1) | instskip(SKIP_1) | instid1(VALU_DEP_2)
	v_add_f64_e64 v[14:15], v[12:13], -v[10:11]
	v_add_f64_e32 v[20:21], v[8:9], v[12:13]
	v_add_f64_e64 v[18:19], v[12:13], -v[14:15]
	v_add_f64_e64 v[4:5], v[4:5], -v[14:15]
	s_delay_alu instid0(VALU_DEP_3) | instskip(NEXT) | instid1(VALU_DEP_3)
	v_ldexp_f64 v[14:15], v[20:21], -2
	v_add_f64_e64 v[10:11], v[10:11], -v[18:19]
	v_add_f64_e32 v[18:19], v[22:23], v[6:7]
	s_delay_alu instid0(VALU_DEP_3) | instskip(NEXT) | instid1(VALU_DEP_3)
	v_cmp_neq_f64_e64 vcc_lo, 0x7ff00000, |v[14:15]|
	v_add_f64_e32 v[4:5], v[4:5], v[10:11]
	v_fract_f64_e32 v[10:11], v[14:15]
	s_delay_alu instid0(VALU_DEP_1) | instskip(NEXT) | instid1(VALU_DEP_1)
	v_ldexp_f64 v[10:11], v[10:11], 2
	v_dual_add_f64 v[8:9], v[20:21], -v[8:9] :: v_dual_cndmask_b32 v10, 0, v10, vcc_lo
	s_delay_alu instid0(VALU_DEP_1) | instskip(SKIP_1) | instid1(VALU_DEP_1)
	v_dual_add_f64 v[8:9], v[12:13], -v[8:9] :: v_dual_cndmask_b32 v11, 0, v11, vcc_lo
	v_add_f64_e32 v[12:13], v[18:19], v[4:5]
	v_add_f64_e32 v[14:15], v[8:9], v[12:13]
	v_add_f64_e64 v[26:27], v[12:13], -v[18:19]
	s_delay_alu instid0(VALU_DEP_2) | instskip(NEXT) | instid1(VALU_DEP_2)
	v_add_f64_e32 v[20:21], v[14:15], v[10:11]
	v_add_f64_e64 v[32:33], v[12:13], -v[26:27]
	v_add_f64_e64 v[4:5], v[4:5], -v[26:27]
	;; [unrolled: 1-line block ×3, first 2 shown]
	s_delay_alu instid0(VALU_DEP_4) | instskip(SKIP_1) | instid1(VALU_DEP_3)
	v_cmp_gt_f64_e32 vcc_lo, 0, v[20:21]
	v_add_f64_e64 v[20:21], v[18:19], -v[22:23]
	v_add_f64_e64 v[8:9], v[12:13], -v[8:9]
	v_cndmask_b32_e64 v25, 0, 0x40100000, vcc_lo
	s_delay_alu instid0(VALU_DEP_3) | instskip(SKIP_2) | instid1(VALU_DEP_4)
	v_add_f64_e64 v[30:31], v[18:19], -v[20:21]
	v_add_f64_e64 v[6:7], v[6:7], -v[20:21]
	v_add_f64_e64 v[18:19], v[18:19], -v[32:33]
	v_add_f64_e32 v[10:11], v[10:11], v[24:25]
	s_delay_alu instid0(VALU_DEP_4) | instskip(NEXT) | instid1(VALU_DEP_3)
	v_add_f64_e64 v[20:21], v[22:23], -v[30:31]
	v_add_f64_e32 v[4:5], v[4:5], v[18:19]
	s_delay_alu instid0(VALU_DEP_3) | instskip(NEXT) | instid1(VALU_DEP_3)
	v_add_f64_e32 v[28:29], v[14:15], v[10:11]
	v_add_f64_e32 v[6:7], v[6:7], v[20:21]
	s_delay_alu instid0(VALU_DEP_2) | instskip(NEXT) | instid1(VALU_DEP_2)
	v_cvt_i32_f64_e32 v25, v[28:29]
	v_add_f64_e32 v[4:5], v[6:7], v[4:5]
	s_delay_alu instid0(VALU_DEP_2) | instskip(NEXT) | instid1(VALU_DEP_2)
	v_cvt_f64_i32_e32 v[26:27], v25
	v_add_f64_e32 v[4:5], v[16:17], v[4:5]
	s_delay_alu instid0(VALU_DEP_2) | instskip(NEXT) | instid1(VALU_DEP_2)
	v_add_f64_e64 v[10:11], v[10:11], -v[26:27]
	v_add_f64_e32 v[4:5], v[8:9], v[4:5]
	s_delay_alu instid0(VALU_DEP_2) | instskip(NEXT) | instid1(VALU_DEP_1)
	v_add_f64_e32 v[6:7], v[14:15], v[10:11]
	v_add_f64_e64 v[10:11], v[6:7], -v[10:11]
	v_cmp_le_f64_e32 vcc_lo, 0.5, v[6:7]
	s_delay_alu instid0(VALU_DEP_2) | instskip(SKIP_2) | instid1(VALU_DEP_1)
	v_add_f64_e64 v[10:11], v[14:15], -v[10:11]
	v_add_co_ci_u32_e64 v8, null, 0, v25, vcc_lo
	v_cndmask_b32_e64 v25, 0, 0x3ff00000, vcc_lo
	v_add_f64_e64 v[6:7], v[6:7], -v[24:25]
	s_delay_alu instid0(VALU_DEP_4) | instskip(NEXT) | instid1(VALU_DEP_1)
	v_add_f64_e32 v[4:5], v[4:5], v[10:11]
	v_add_f64_e32 v[10:11], v[6:7], v[4:5]
	s_delay_alu instid0(VALU_DEP_1) | instskip(SKIP_1) | instid1(VALU_DEP_2)
	v_mul_f64_e32 v[12:13], 0x3ff921fb54442d18, v[10:11]
	v_add_f64_e64 v[6:7], v[10:11], -v[6:7]
	v_fma_f64 v[14:15], v[10:11], s[2:3], -v[12:13]
	s_delay_alu instid0(VALU_DEP_2) | instskip(NEXT) | instid1(VALU_DEP_2)
	v_add_f64_e64 v[4:5], v[4:5], -v[6:7]
	v_fmamk_f64 v[6:7], v[10:11], 0x3c91a62633145c07, v[14:15]
	s_delay_alu instid0(VALU_DEP_1) | instskip(NEXT) | instid1(VALU_DEP_1)
	v_fmac_f64_e32 v[6:7], 0x3ff921fb54442d18, v[4:5]
	v_add_f64_e32 v[4:5], v[12:13], v[6:7]
	s_delay_alu instid0(VALU_DEP_1) | instskip(NEXT) | instid1(VALU_DEP_1)
	v_add_f64_e64 v[10:11], v[4:5], -v[12:13]
	v_add_f64_e64 v[6:7], v[6:7], -v[10:11]
.LBB91_11:
	s_and_not1_saveexec_b32 s0, s0
	s_cbranch_execz .LBB91_13
; %bb.12:
	s_delay_alu instid0(VALU_DEP_1) | instskip(NEXT) | instid1(VALU_DEP_1)
	v_mul_f64_e32 v[4:5], 0x3fe45f306dc9c883, v[2:3]
	v_rndne_f64_e32 v[8:9], v[4:5]
	s_delay_alu instid0(VALU_DEP_1) | instskip(SKIP_1) | instid1(VALU_DEP_1)
	v_mul_f64_e32 v[4:5], 0xbc91a62633145c00, v[8:9]
	v_fmamk_f64 v[6:7], v[8:9], 0xbff921fb54442d18, v[2:3]
	v_add_f64_e32 v[10:11], v[6:7], v[4:5]
	s_delay_alu instid0(VALU_DEP_1) | instskip(SKIP_1) | instid1(VALU_DEP_1)
	v_add_f64_e64 v[12:13], v[6:7], -v[10:11]
	v_fmamk_f64 v[6:7], v[8:9], 0xbc91a62633145c00, v[6:7]
	v_add_f64_e64 v[10:11], v[10:11], -v[6:7]
	s_delay_alu instid0(VALU_DEP_3) | instskip(SKIP_1) | instid1(VALU_DEP_2)
	v_add_f64_e32 v[12:13], v[12:13], v[4:5]
	v_fmamk_f64 v[4:5], v[8:9], 0x3c91a62633145c00, v[4:5]
	v_add_f64_e32 v[10:11], v[10:11], v[12:13]
	s_delay_alu instid0(VALU_DEP_1) | instskip(NEXT) | instid1(VALU_DEP_1)
	v_add_f64_e64 v[4:5], v[10:11], -v[4:5]
	v_fmamk_f64 v[10:11], v[8:9], 0xb97b839a252049c0, v[4:5]
	v_cvt_i32_f64_e32 v8, v[8:9]
	s_delay_alu instid0(VALU_DEP_2) | instskip(NEXT) | instid1(VALU_DEP_1)
	v_add_f64_e32 v[4:5], v[6:7], v[10:11]
	v_add_f64_e64 v[6:7], v[4:5], -v[6:7]
	s_delay_alu instid0(VALU_DEP_1)
	v_add_f64_e64 v[6:7], v[10:11], -v[6:7]
.LBB91_13:
	s_or_b32 exec_lo, exec_lo, s0
	v_mul_f64_e32 v[10:11], v[4:5], v[4:5]
	s_delay_alu instid0(VALU_DEP_2) | instskip(SKIP_3) | instid1(VALU_DEP_1)
	v_mul_f64_e32 v[18:19], 0.5, v[6:7]
	s_mov_b64 s[0:1], 0x3de5e0b2f9a43bb8
	v_lshl_add_u64 v[0:1], v[0:1], 2, s[12:13]
	v_dual_lshlrev_b32 v8, 30, v8 :: v_dual_bitop2_b32 v2, 1, v8 bitop3:0x40
	v_cmp_eq_u32_e32 vcc_lo, 0, v2
	s_delay_alu instid0(VALU_DEP_2) | instskip(SKIP_4) | instid1(VALU_DEP_3)
	v_xor_b32_e32 v3, v8, v3
	v_mul_f64_e32 v[12:13], 0.5, v[10:11]
	v_mul_f64_e64 v[20:21], v[4:5], -v[10:11]
	v_fmaak_f64 v[22:23], s[0:1], v[10:11], 0xbe5ae600b42fdfa7
	s_mov_b64 s[0:1], 0xbda907db46cc5e42
	v_add_f64_e64 v[14:15], -v[12:13], 1.0
	s_delay_alu instid0(VALU_DEP_1) | instskip(NEXT) | instid1(VALU_DEP_1)
	v_add_f64_e64 v[16:17], -v[14:15], 1.0
	v_add_f64_e64 v[12:13], v[16:17], -v[12:13]
	s_delay_alu instid0(VALU_DEP_4) | instskip(SKIP_1) | instid1(VALU_DEP_2)
	v_fmaak_f64 v[16:17], v[10:11], v[22:23], 0x3ec71de3796cde01
	v_mul_f64_e32 v[22:23], v[10:11], v[10:11]
	v_fmaak_f64 v[16:17], v[10:11], v[16:17], 0xbf2a01a019e83e5c
	s_delay_alu instid0(VALU_DEP_1) | instskip(NEXT) | instid1(VALU_DEP_1)
	v_fmaak_f64 v[16:17], v[10:11], v[16:17], 0x3f81111111110bb3
	v_fmac_f64_e32 v[18:19], v[20:21], v[16:17]
	v_fmaak_f64 v[16:17], s[0:1], v[10:11], 0x3e21eeb69037ab78
	s_delay_alu instid0(VALU_DEP_1) | instskip(SKIP_1) | instid1(VALU_DEP_2)
	v_fmaak_f64 v[16:17], v[10:11], v[16:17], 0xbe927e4fa17f65f6
	v_fma_f64 v[12:13], v[4:5], -v[6:7], v[12:13]
	v_fmaak_f64 v[16:17], v[10:11], v[16:17], 0x3efa01a019f4ec90
	s_delay_alu instid0(VALU_DEP_1) | instskip(SKIP_1) | instid1(VALU_DEP_2)
	v_fmaak_f64 v[16:17], v[10:11], v[16:17], 0xbf56c16c16c16967
	v_fma_f64 v[6:7], v[10:11], v[18:19], -v[6:7]
	v_fmaak_f64 v[10:11], v[10:11], v[16:17], 0x3fa5555555555555
	s_delay_alu instid0(VALU_DEP_1) | instskip(NEXT) | instid1(VALU_DEP_3)
	v_fmac_f64_e32 v[12:13], v[22:23], v[10:11]
	v_fmamk_f64 v[6:7], v[20:21], 0xbfc5555555555555, v[6:7]
	s_delay_alu instid0(VALU_DEP_1) | instskip(NEXT) | instid1(VALU_DEP_3)
	v_add_f64_e64 v[4:5], v[4:5], -v[6:7]
	v_add_f64_e32 v[6:7], v[14:15], v[12:13]
	s_delay_alu instid0(VALU_DEP_1) | instskip(NEXT) | instid1(VALU_DEP_1)
	v_dual_cndmask_b32 v2, v6, v4, vcc_lo :: v_dual_cndmask_b32 v4, v7, v5, vcc_lo
	v_bitop3_b32 v3, v4, v3, 0x80000000 bitop3:0x78
	s_delay_alu instid0(VALU_DEP_1)
	v_cvt_i32_f64_e32 v2, v[2:3]
	global_store_b32 v[0:1], v2, off
.LBB91_14:
	s_endpgm
	.section	.rodata,"a",@progbits
	.p2align	6, 0x0
	.amdhsa_kernel _Z11fill_kernelIiZ21hipblaslt_init_deviceIiEv8ABC_dims24hipblaslt_initializationbPT_mmmmmEUlmE2_EvS4_mmT0_
		.amdhsa_group_segment_fixed_size 0
		.amdhsa_private_segment_fixed_size 0
		.amdhsa_kernarg_size 312
		.amdhsa_user_sgpr_count 2
		.amdhsa_user_sgpr_dispatch_ptr 0
		.amdhsa_user_sgpr_queue_ptr 0
		.amdhsa_user_sgpr_kernarg_segment_ptr 1
		.amdhsa_user_sgpr_dispatch_id 0
		.amdhsa_user_sgpr_kernarg_preload_length 0
		.amdhsa_user_sgpr_kernarg_preload_offset 0
		.amdhsa_user_sgpr_private_segment_size 0
		.amdhsa_wavefront_size32 1
		.amdhsa_uses_dynamic_stack 0
		.amdhsa_enable_private_segment 0
		.amdhsa_system_sgpr_workgroup_id_x 1
		.amdhsa_system_sgpr_workgroup_id_y 0
		.amdhsa_system_sgpr_workgroup_id_z 0
		.amdhsa_system_sgpr_workgroup_info 0
		.amdhsa_system_vgpr_workitem_id 0
		.amdhsa_next_free_vgpr 34
		.amdhsa_next_free_sgpr 24
		.amdhsa_named_barrier_count 0
		.amdhsa_reserve_vcc 1
		.amdhsa_float_round_mode_32 0
		.amdhsa_float_round_mode_16_64 0
		.amdhsa_float_denorm_mode_32 3
		.amdhsa_float_denorm_mode_16_64 3
		.amdhsa_fp16_overflow 0
		.amdhsa_memory_ordered 1
		.amdhsa_forward_progress 1
		.amdhsa_inst_pref_size 22
		.amdhsa_round_robin_scheduling 0
		.amdhsa_exception_fp_ieee_invalid_op 0
		.amdhsa_exception_fp_denorm_src 0
		.amdhsa_exception_fp_ieee_div_zero 0
		.amdhsa_exception_fp_ieee_overflow 0
		.amdhsa_exception_fp_ieee_underflow 0
		.amdhsa_exception_fp_ieee_inexact 0
		.amdhsa_exception_int_div_zero 0
	.end_amdhsa_kernel
	.section	.text._Z11fill_kernelIiZ21hipblaslt_init_deviceIiEv8ABC_dims24hipblaslt_initializationbPT_mmmmmEUlmE2_EvS4_mmT0_,"axG",@progbits,_Z11fill_kernelIiZ21hipblaslt_init_deviceIiEv8ABC_dims24hipblaslt_initializationbPT_mmmmmEUlmE2_EvS4_mmT0_,comdat
.Lfunc_end91:
	.size	_Z11fill_kernelIiZ21hipblaslt_init_deviceIiEv8ABC_dims24hipblaslt_initializationbPT_mmmmmEUlmE2_EvS4_mmT0_, .Lfunc_end91-_Z11fill_kernelIiZ21hipblaslt_init_deviceIiEv8ABC_dims24hipblaslt_initializationbPT_mmmmmEUlmE2_EvS4_mmT0_
                                        ; -- End function
	.set _Z11fill_kernelIiZ21hipblaslt_init_deviceIiEv8ABC_dims24hipblaslt_initializationbPT_mmmmmEUlmE2_EvS4_mmT0_.num_vgpr, 34
	.set _Z11fill_kernelIiZ21hipblaslt_init_deviceIiEv8ABC_dims24hipblaslt_initializationbPT_mmmmmEUlmE2_EvS4_mmT0_.num_agpr, 0
	.set _Z11fill_kernelIiZ21hipblaslt_init_deviceIiEv8ABC_dims24hipblaslt_initializationbPT_mmmmmEUlmE2_EvS4_mmT0_.numbered_sgpr, 24
	.set _Z11fill_kernelIiZ21hipblaslt_init_deviceIiEv8ABC_dims24hipblaslt_initializationbPT_mmmmmEUlmE2_EvS4_mmT0_.num_named_barrier, 0
	.set _Z11fill_kernelIiZ21hipblaslt_init_deviceIiEv8ABC_dims24hipblaslt_initializationbPT_mmmmmEUlmE2_EvS4_mmT0_.private_seg_size, 0
	.set _Z11fill_kernelIiZ21hipblaslt_init_deviceIiEv8ABC_dims24hipblaslt_initializationbPT_mmmmmEUlmE2_EvS4_mmT0_.uses_vcc, 1
	.set _Z11fill_kernelIiZ21hipblaslt_init_deviceIiEv8ABC_dims24hipblaslt_initializationbPT_mmmmmEUlmE2_EvS4_mmT0_.uses_flat_scratch, 0
	.set _Z11fill_kernelIiZ21hipblaslt_init_deviceIiEv8ABC_dims24hipblaslt_initializationbPT_mmmmmEUlmE2_EvS4_mmT0_.has_dyn_sized_stack, 0
	.set _Z11fill_kernelIiZ21hipblaslt_init_deviceIiEv8ABC_dims24hipblaslt_initializationbPT_mmmmmEUlmE2_EvS4_mmT0_.has_recursion, 0
	.set _Z11fill_kernelIiZ21hipblaslt_init_deviceIiEv8ABC_dims24hipblaslt_initializationbPT_mmmmmEUlmE2_EvS4_mmT0_.has_indirect_call, 0
	.section	.AMDGPU.csdata,"",@progbits
; Kernel info:
; codeLenInByte = 2756
; TotalNumSgprs: 26
; NumVgprs: 34
; ScratchSize: 0
; MemoryBound: 0
; FloatMode: 240
; IeeeMode: 1
; LDSByteSize: 0 bytes/workgroup (compile time only)
; SGPRBlocks: 0
; VGPRBlocks: 2
; NumSGPRsForWavesPerEU: 26
; NumVGPRsForWavesPerEU: 34
; NamedBarCnt: 0
; Occupancy: 16
; WaveLimiterHint : 0
; COMPUTE_PGM_RSRC2:SCRATCH_EN: 0
; COMPUTE_PGM_RSRC2:USER_SGPR: 2
; COMPUTE_PGM_RSRC2:TRAP_HANDLER: 0
; COMPUTE_PGM_RSRC2:TGID_X_EN: 1
; COMPUTE_PGM_RSRC2:TGID_Y_EN: 0
; COMPUTE_PGM_RSRC2:TGID_Z_EN: 0
; COMPUTE_PGM_RSRC2:TIDIG_COMP_CNT: 0
	.section	.text._Z11fill_kernelIiZ21hipblaslt_init_deviceIiEv8ABC_dims24hipblaslt_initializationbPT_mmmmmEUlmE3_EvS4_mmT0_,"axG",@progbits,_Z11fill_kernelIiZ21hipblaslt_init_deviceIiEv8ABC_dims24hipblaslt_initializationbPT_mmmmmEUlmE3_EvS4_mmT0_,comdat
	.protected	_Z11fill_kernelIiZ21hipblaslt_init_deviceIiEv8ABC_dims24hipblaslt_initializationbPT_mmmmmEUlmE3_EvS4_mmT0_ ; -- Begin function _Z11fill_kernelIiZ21hipblaslt_init_deviceIiEv8ABC_dims24hipblaslt_initializationbPT_mmmmmEUlmE3_EvS4_mmT0_
	.globl	_Z11fill_kernelIiZ21hipblaslt_init_deviceIiEv8ABC_dims24hipblaslt_initializationbPT_mmmmmEUlmE3_EvS4_mmT0_
	.p2align	8
	.type	_Z11fill_kernelIiZ21hipblaslt_init_deviceIiEv8ABC_dims24hipblaslt_initializationbPT_mmmmmEUlmE3_EvS4_mmT0_,@function
_Z11fill_kernelIiZ21hipblaslt_init_deviceIiEv8ABC_dims24hipblaslt_initializationbPT_mmmmmEUlmE3_EvS4_mmT0_: ; @_Z11fill_kernelIiZ21hipblaslt_init_deviceIiEv8ABC_dims24hipblaslt_initializationbPT_mmmmmEUlmE3_EvS4_mmT0_
; %bb.0:
	s_clause 0x1
	s_load_b32 s2, s[0:1], 0x44
	s_load_b128 s[12:15], s[0:1], 0x0
	s_bfe_u32 s3, ttmp6, 0x4000c
	s_and_b32 s4, ttmp6, 15
	s_add_co_i32 s3, s3, 1
	s_getreg_b32 s5, hwreg(HW_REG_IB_STS2, 6, 4)
	s_mul_i32 s3, ttmp9, s3
	v_mov_b32_e32 v3, 0
	s_add_co_i32 s4, s4, s3
	s_wait_kmcnt 0x0
	s_and_b32 s2, s2, 0xffff
	s_cmp_eq_u32 s5, 0
	s_cselect_b32 s3, ttmp9, s4
	s_delay_alu instid0(SALU_CYCLE_1) | instskip(SKIP_1) | instid1(VALU_DEP_1)
	v_mad_u32 v2, s3, s2, v0
	s_mov_b32 s2, exec_lo
	v_cmpx_gt_u64_e64 s[14:15], v[2:3]
	s_cbranch_execz .LBB92_14
; %bb.1:
	s_clause 0x1
	s_load_b64 s[2:3], s[0:1], 0x10
	s_load_b256 s[4:11], s[0:1], 0x18
	s_wait_xcnt 0x0
	s_mov_b32 s0, exec_lo
	v_mov_b32_e32 v4, v3
	s_wait_kmcnt 0x0
	v_add_nc_u64_e32 v[0:1], s[2:3], v[2:3]
                                        ; implicit-def: $vgpr2_vgpr3
	s_delay_alu instid0(VALU_DEP_1) | instskip(NEXT) | instid1(VALU_DEP_1)
	v_or_b32_e32 v5, s9, v1
	v_cmpx_ne_u64_e32 0, v[4:5]
	s_xor_b32 s1, exec_lo, s0
	s_cbranch_execz .LBB92_3
; %bb.2:
	s_cvt_f32_u32 s0, s8
	s_cvt_f32_u32 s2, s9
	s_sub_nc_u64 s[14:15], 0, s[8:9]
	s_mov_b32 s19, 0
	v_dual_mov_b32 v3, 0 :: v_dual_mov_b32 v2, v0
	s_fmamk_f32 s0, s2, 0x4f800000, s0
	s_delay_alu instid0(SALU_CYCLE_3) | instskip(NEXT) | instid1(TRANS32_DEP_1)
	v_s_rcp_f32 s0, s0
	s_mul_f32 s0, s0, 0x5f7ffffc
	s_delay_alu instid0(SALU_CYCLE_3) | instskip(NEXT) | instid1(SALU_CYCLE_3)
	s_mul_f32 s2, s0, 0x2f800000
	s_trunc_f32 s2, s2
	s_delay_alu instid0(SALU_CYCLE_3) | instskip(SKIP_1) | instid1(SALU_CYCLE_2)
	s_fmamk_f32 s0, s2, 0xcf800000, s0
	s_cvt_u32_f32 s3, s2
	s_cvt_u32_f32 s2, s0
	s_delay_alu instid0(SALU_CYCLE_3) | instskip(NEXT) | instid1(SALU_CYCLE_1)
	s_mul_u64 s[16:17], s[14:15], s[2:3]
	s_mul_hi_u32 s21, s2, s17
	s_mul_i32 s20, s2, s17
	s_mul_hi_u32 s18, s2, s16
	s_mul_i32 s22, s3, s16
	s_add_nc_u64 s[20:21], s[18:19], s[20:21]
	s_mul_hi_u32 s0, s3, s16
	s_mul_hi_u32 s23, s3, s17
	s_mul_i32 s16, s3, s17
	s_add_co_u32 s17, s20, s22
	s_add_co_ci_u32 s18, s21, s0
	s_add_co_ci_u32 s17, s23, 0
	s_delay_alu instid0(SALU_CYCLE_1) | instskip(NEXT) | instid1(SALU_CYCLE_1)
	s_add_nc_u64 s[16:17], s[18:19], s[16:17]
	s_add_co_u32 s2, s2, s16
	s_cselect_b32 s0, -1, 0
	s_delay_alu instid0(SALU_CYCLE_1) | instskip(SKIP_1) | instid1(SALU_CYCLE_1)
	s_cmp_lg_u32 s0, 0
	s_add_co_ci_u32 s3, s3, s17
	s_mul_u64 s[14:15], s[14:15], s[2:3]
	s_delay_alu instid0(SALU_CYCLE_1)
	s_mul_hi_u32 s17, s2, s15
	s_mul_i32 s16, s2, s15
	s_mul_hi_u32 s18, s2, s14
	s_mul_i32 s20, s3, s14
	s_add_nc_u64 s[16:17], s[18:19], s[16:17]
	s_mul_hi_u32 s0, s3, s14
	s_mul_hi_u32 s21, s3, s15
	s_mul_i32 s14, s3, s15
	s_add_co_u32 s15, s16, s20
	s_add_co_ci_u32 s18, s17, s0
	s_add_co_ci_u32 s15, s21, 0
	s_delay_alu instid0(SALU_CYCLE_1) | instskip(NEXT) | instid1(SALU_CYCLE_1)
	s_add_nc_u64 s[14:15], s[18:19], s[14:15]
	s_add_co_u32 s0, s2, s14
	s_cselect_b32 s2, -1, 0
	s_delay_alu instid0(SALU_CYCLE_1)
	s_cmp_lg_u32 s2, 0
	s_add_co_ci_u32 s18, s3, s15
	s_mov_b64 s[2:3], 0xffffffff
	v_mul_u64_e32 v[4:5], s[18:19], v[2:3]
	v_mul_hi_u32 v2, v0, s0
	s_and_b64 s[2:3], s[0:1], s[2:3]
	s_delay_alu instid0(VALU_DEP_1) | instskip(SKIP_1) | instid1(VALU_DEP_1)
	v_add_nc_u64_e32 v[4:5], v[2:3], v[4:5]
	v_mov_b32_e32 v2, v1
	v_mul_u64_e32 v[6:7], s[2:3], v[2:3]
	v_mul_u64_e32 v[8:9], s[18:19], v[2:3]
	s_delay_alu instid0(VALU_DEP_2) | instskip(NEXT) | instid1(VALU_DEP_3)
	v_add_co_u32 v2, vcc_lo, v4, v6
	v_add_co_ci_u32_e32 v2, vcc_lo, v5, v7, vcc_lo
	s_delay_alu instid0(VALU_DEP_3) | instskip(NEXT) | instid1(VALU_DEP_1)
	v_add_co_ci_u32_e32 v9, vcc_lo, 0, v9, vcc_lo
	v_add_nc_u64_e32 v[2:3], v[2:3], v[8:9]
	s_delay_alu instid0(VALU_DEP_1) | instskip(NEXT) | instid1(VALU_DEP_1)
	v_mul_u64_e32 v[4:5], s[8:9], v[2:3]
	v_sub_nc_u32_e32 v6, v1, v5
	s_delay_alu instid0(VALU_DEP_2) | instskip(NEXT) | instid1(VALU_DEP_1)
	v_sub_co_u32 v4, vcc_lo, v0, v4
	v_sub_co_ci_u32_e64 v11, null, v1, v5, vcc_lo
	s_delay_alu instid0(VALU_DEP_3) | instskip(NEXT) | instid1(VALU_DEP_3)
	v_subrev_co_ci_u32_e64 v6, null, s9, v6, vcc_lo
	v_sub_co_u32 v8, s0, v4, s8
	v_cmp_le_u32_e32 vcc_lo, s8, v4
	s_delay_alu instid0(VALU_DEP_3) | instskip(NEXT) | instid1(VALU_DEP_3)
	v_subrev_co_ci_u32_e64 v9, null, 0, v6, s0
	v_cmp_le_u32_e64 s0, s8, v8
	v_add_nc_u64_e32 v[6:7], 2, v[2:3]
	v_cndmask_b32_e64 v12, 0, -1, vcc_lo
	s_delay_alu instid0(VALU_DEP_4) | instskip(SKIP_3) | instid1(VALU_DEP_1)
	v_cmp_eq_u32_e32 vcc_lo, s9, v9
	v_add_nc_u64_e32 v[4:5], 1, v[2:3]
	v_cndmask_b32_e64 v8, 0, -1, s0
	v_cmp_le_u32_e64 s0, s9, v9
	v_cndmask_b32_e64 v10, 0, -1, s0
	v_cmp_eq_u32_e64 s0, s9, v11
	s_delay_alu instid0(VALU_DEP_2) | instskip(SKIP_2) | instid1(VALU_DEP_3)
	v_cndmask_b32_e32 v8, v10, v8, vcc_lo
	v_cmp_le_u32_e32 vcc_lo, s9, v11
	v_cndmask_b32_e64 v9, 0, -1, vcc_lo
	v_cmp_ne_u32_e32 vcc_lo, 0, v8
	s_delay_alu instid0(VALU_DEP_2) | instskip(SKIP_1) | instid1(VALU_DEP_2)
	v_dual_cndmask_b32 v8, v9, v12, s0 :: v_dual_cndmask_b32 v4, v4, v6, vcc_lo
	v_cndmask_b32_e32 v5, v5, v7, vcc_lo
	v_cmp_ne_u32_e32 vcc_lo, 0, v8
	s_delay_alu instid0(VALU_DEP_2)
	v_dual_cndmask_b32 v3, v3, v5 :: v_dual_cndmask_b32 v2, v2, v4
.LBB92_3:
	s_and_not1_saveexec_b32 s0, s1
	s_cbranch_execz .LBB92_5
; %bb.4:
	v_cvt_f32_u32_e32 v2, s8
	s_sub_co_i32 s1, 0, s8
	s_delay_alu instid0(VALU_DEP_1) | instskip(SKIP_1) | instid1(TRANS32_DEP_1)
	v_rcp_iflag_f32_e32 v2, v2
	v_nop
	v_mul_f32_e32 v2, 0x4f7ffffe, v2
	s_delay_alu instid0(VALU_DEP_1) | instskip(NEXT) | instid1(VALU_DEP_1)
	v_cvt_u32_f32_e32 v2, v2
	v_mul_lo_u32 v3, s1, v2
	s_delay_alu instid0(VALU_DEP_1) | instskip(NEXT) | instid1(VALU_DEP_1)
	v_mul_hi_u32 v3, v2, v3
	v_add_nc_u32_e32 v2, v2, v3
	s_delay_alu instid0(VALU_DEP_1) | instskip(NEXT) | instid1(VALU_DEP_1)
	v_mul_hi_u32 v2, v0, v2
	v_mul_lo_u32 v3, v2, s8
	s_delay_alu instid0(VALU_DEP_1) | instskip(NEXT) | instid1(VALU_DEP_1)
	v_dual_add_nc_u32 v4, 1, v2 :: v_dual_sub_nc_u32 v3, v0, v3
	v_subrev_nc_u32_e32 v5, s8, v3
	v_cmp_le_u32_e32 vcc_lo, s8, v3
	s_delay_alu instid0(VALU_DEP_2) | instskip(NEXT) | instid1(VALU_DEP_1)
	v_dual_cndmask_b32 v3, v3, v5 :: v_dual_cndmask_b32 v2, v2, v4
	v_cmp_le_u32_e32 vcc_lo, s8, v3
	s_delay_alu instid0(VALU_DEP_2) | instskip(NEXT) | instid1(VALU_DEP_1)
	v_dual_mov_b32 v3, 0 :: v_dual_add_nc_u32 v4, 1, v2
	v_cndmask_b32_e32 v2, v2, v4, vcc_lo
.LBB92_5:
	s_or_b32 exec_lo, exec_lo, s0
	s_delay_alu instid0(VALU_DEP_1) | instskip(SKIP_2) | instid1(VALU_DEP_2)
	v_mul_u64_e32 v[4:5], s[8:9], v[2:3]
                                        ; implicit-def: $vgpr8_vgpr9
	s_mov_b32 s0, exec_lo
	v_mov_b32_e32 v6, 0
	v_sub_nc_u64_e32 v[4:5], v[0:1], v[4:5]
	s_delay_alu instid0(VALU_DEP_1) | instskip(NEXT) | instid1(VALU_DEP_1)
	v_or_b32_e32 v7, s11, v5
	v_cmpx_ne_u64_e32 0, v[6:7]
	s_xor_b32 s1, exec_lo, s0
	s_cbranch_execz .LBB92_7
; %bb.6:
	s_cvt_f32_u32 s0, s10
	s_cvt_f32_u32 s2, s11
	s_sub_nc_u64 s[8:9], 0, s[10:11]
	s_mov_b32 s17, 0
	v_dual_mov_b32 v8, v4 :: v_dual_mov_b32 v9, v6
	s_fmamk_f32 s0, s2, 0x4f800000, s0
	v_dual_mov_b32 v10, v5 :: v_dual_mov_b32 v11, v6
	v_dual_mov_b32 v15, v6 :: v_dual_mov_b32 v7, v6
	s_delay_alu instid0(SALU_CYCLE_1) | instskip(NEXT) | instid1(TRANS32_DEP_1)
	v_s_rcp_f32 s0, s0
	s_mul_f32 s0, s0, 0x5f7ffffc
	s_delay_alu instid0(SALU_CYCLE_3) | instskip(NEXT) | instid1(SALU_CYCLE_3)
	s_mul_f32 s2, s0, 0x2f800000
	s_trunc_f32 s2, s2
	s_delay_alu instid0(SALU_CYCLE_3) | instskip(SKIP_1) | instid1(SALU_CYCLE_2)
	s_fmamk_f32 s0, s2, 0xcf800000, s0
	s_cvt_u32_f32 s3, s2
	s_cvt_u32_f32 s2, s0
	s_delay_alu instid0(SALU_CYCLE_3) | instskip(NEXT) | instid1(SALU_CYCLE_1)
	s_mul_u64 s[14:15], s[8:9], s[2:3]
	s_mul_hi_u32 s19, s2, s15
	s_mul_i32 s18, s2, s15
	s_mul_hi_u32 s16, s2, s14
	s_mul_i32 s20, s3, s14
	s_add_nc_u64 s[18:19], s[16:17], s[18:19]
	s_mul_hi_u32 s0, s3, s14
	s_mul_hi_u32 s21, s3, s15
	s_mul_i32 s14, s3, s15
	s_add_co_u32 s15, s18, s20
	s_add_co_ci_u32 s16, s19, s0
	s_add_co_ci_u32 s15, s21, 0
	s_delay_alu instid0(SALU_CYCLE_1) | instskip(NEXT) | instid1(SALU_CYCLE_1)
	s_add_nc_u64 s[14:15], s[16:17], s[14:15]
	s_add_co_u32 s2, s2, s14
	s_cselect_b32 s0, -1, 0
	s_delay_alu instid0(SALU_CYCLE_1) | instskip(SKIP_1) | instid1(SALU_CYCLE_1)
	s_cmp_lg_u32 s0, 0
	s_add_co_ci_u32 s3, s3, s15
	s_mul_u64 s[8:9], s[8:9], s[2:3]
	s_delay_alu instid0(SALU_CYCLE_1)
	s_mul_hi_u32 s15, s2, s9
	s_mul_i32 s14, s2, s9
	s_mul_hi_u32 s16, s2, s8
	s_mul_i32 s18, s3, s8
	s_add_nc_u64 s[14:15], s[16:17], s[14:15]
	s_mul_hi_u32 s0, s3, s8
	s_mul_hi_u32 s19, s3, s9
	s_mul_i32 s8, s3, s9
	s_add_co_u32 s9, s14, s18
	s_add_co_ci_u32 s16, s15, s0
	s_add_co_ci_u32 s9, s19, 0
	s_delay_alu instid0(SALU_CYCLE_1) | instskip(NEXT) | instid1(SALU_CYCLE_1)
	s_add_nc_u64 s[8:9], s[16:17], s[8:9]
	s_add_co_u32 s0, s2, s8
	s_cselect_b32 s2, -1, 0
	v_nop
	v_mul_hi_u32 v14, v4, s0
	s_cmp_lg_u32 s2, 0
	s_add_co_ci_u32 s16, s3, s9
	s_mov_b64 s[2:3], 0xffffffff
	v_mul_u64_e32 v[8:9], s[16:17], v[8:9]
	s_and_b64 s[2:3], s[0:1], s[2:3]
	s_delay_alu instid0(SALU_CYCLE_1) | instskip(SKIP_1) | instid1(VALU_DEP_3)
	v_mul_u64_e32 v[12:13], s[2:3], v[10:11]
	v_mul_u64_e32 v[10:11], s[16:17], v[10:11]
	v_add_nc_u64_e32 v[8:9], v[14:15], v[8:9]
	s_delay_alu instid0(VALU_DEP_1) | instskip(NEXT) | instid1(VALU_DEP_2)
	v_add_co_u32 v6, vcc_lo, v8, v12
	v_add_co_ci_u32_e32 v6, vcc_lo, v9, v13, vcc_lo
	s_delay_alu instid0(VALU_DEP_4) | instskip(NEXT) | instid1(VALU_DEP_1)
	v_add_co_ci_u32_e32 v11, vcc_lo, 0, v11, vcc_lo
	v_add_nc_u64_e32 v[6:7], v[6:7], v[10:11]
	s_delay_alu instid0(VALU_DEP_1) | instskip(NEXT) | instid1(VALU_DEP_1)
	v_mul_u64_e32 v[8:9], s[10:11], v[6:7]
	v_sub_nc_u32_e32 v10, v5, v9
	s_delay_alu instid0(VALU_DEP_2) | instskip(NEXT) | instid1(VALU_DEP_1)
	v_sub_co_u32 v8, vcc_lo, v4, v8
	v_sub_co_ci_u32_e64 v15, null, v5, v9, vcc_lo
	s_delay_alu instid0(VALU_DEP_3) | instskip(NEXT) | instid1(VALU_DEP_3)
	v_subrev_co_ci_u32_e64 v10, null, s11, v10, vcc_lo
	v_sub_co_u32 v12, s0, v8, s10
	v_cmp_le_u32_e32 vcc_lo, s10, v8
	s_delay_alu instid0(VALU_DEP_3) | instskip(NEXT) | instid1(VALU_DEP_3)
	v_subrev_co_ci_u32_e64 v13, null, 0, v10, s0
	v_cmp_le_u32_e64 s0, s10, v12
	v_add_nc_u64_e32 v[10:11], 2, v[6:7]
	v_cndmask_b32_e64 v16, 0, -1, vcc_lo
	s_delay_alu instid0(VALU_DEP_4) | instskip(SKIP_3) | instid1(VALU_DEP_1)
	v_cmp_eq_u32_e32 vcc_lo, s11, v13
	v_add_nc_u64_e32 v[8:9], 1, v[6:7]
	v_cndmask_b32_e64 v12, 0, -1, s0
	v_cmp_le_u32_e64 s0, s11, v13
	v_cndmask_b32_e64 v14, 0, -1, s0
	v_cmp_eq_u32_e64 s0, s11, v15
	s_delay_alu instid0(VALU_DEP_2) | instskip(SKIP_2) | instid1(VALU_DEP_3)
	v_cndmask_b32_e32 v12, v14, v12, vcc_lo
	v_cmp_le_u32_e32 vcc_lo, s11, v15
	v_cndmask_b32_e64 v13, 0, -1, vcc_lo
	v_cmp_ne_u32_e32 vcc_lo, 0, v12
	s_delay_alu instid0(VALU_DEP_2) | instskip(SKIP_1) | instid1(VALU_DEP_2)
	v_dual_cndmask_b32 v12, v13, v16, s0 :: v_dual_cndmask_b32 v8, v8, v10, vcc_lo
	v_cndmask_b32_e32 v9, v9, v11, vcc_lo
	v_cmp_ne_u32_e32 vcc_lo, 0, v12
	s_delay_alu instid0(VALU_DEP_2)
	v_dual_cndmask_b32 v8, v6, v8 :: v_dual_cndmask_b32 v9, v7, v9
.LBB92_7:
	s_and_not1_saveexec_b32 s0, s1
	s_cbranch_execz .LBB92_9
; %bb.8:
	v_cvt_f32_u32_e32 v6, s10
	s_sub_co_i32 s1, 0, s10
	s_delay_alu instid0(VALU_DEP_1) | instskip(SKIP_1) | instid1(TRANS32_DEP_1)
	v_rcp_iflag_f32_e32 v6, v6
	v_nop
	v_mul_f32_e32 v6, 0x4f7ffffe, v6
	s_delay_alu instid0(VALU_DEP_1) | instskip(NEXT) | instid1(VALU_DEP_1)
	v_cvt_u32_f32_e32 v6, v6
	v_mul_lo_u32 v7, s1, v6
	s_delay_alu instid0(VALU_DEP_1) | instskip(NEXT) | instid1(VALU_DEP_1)
	v_mul_hi_u32 v7, v6, v7
	v_add_nc_u32_e32 v6, v6, v7
	s_delay_alu instid0(VALU_DEP_1) | instskip(NEXT) | instid1(VALU_DEP_1)
	v_mul_hi_u32 v6, v4, v6
	v_mul_lo_u32 v7, v6, s10
	s_delay_alu instid0(VALU_DEP_1) | instskip(NEXT) | instid1(VALU_DEP_1)
	v_dual_add_nc_u32 v8, 1, v6 :: v_dual_sub_nc_u32 v7, v4, v7
	v_subrev_nc_u32_e32 v9, s10, v7
	v_cmp_le_u32_e32 vcc_lo, s10, v7
	s_delay_alu instid0(VALU_DEP_2) | instskip(NEXT) | instid1(VALU_DEP_4)
	v_dual_cndmask_b32 v7, v7, v9, vcc_lo :: v_dual_mov_b32 v9, 0
	v_cndmask_b32_e32 v6, v6, v8, vcc_lo
	s_delay_alu instid0(VALU_DEP_2) | instskip(NEXT) | instid1(VALU_DEP_2)
	v_cmp_le_u32_e32 vcc_lo, s10, v7
	v_add_nc_u32_e32 v8, 1, v6
	s_delay_alu instid0(VALU_DEP_1)
	v_cndmask_b32_e32 v8, v6, v8, vcc_lo
.LBB92_9:
	s_or_b32 exec_lo, exec_lo, s0
	s_delay_alu instid0(VALU_DEP_1) | instskip(SKIP_1) | instid1(VALU_DEP_1)
	v_mul_u64_e32 v[6:7], s[10:11], v[8:9]
	v_mad_nc_u64_u32 v[8:9], v2, s6, v[8:9]
	v_mad_u32 v3, v3, s6, v9
	s_delay_alu instid0(VALU_DEP_1) | instskip(NEXT) | instid1(VALU_DEP_4)
	v_mad_u32 v2, v2, s7, v3
	v_sub_nc_u64_e32 v[4:5], v[4:5], v[6:7]
	s_delay_alu instid0(VALU_DEP_1) | instskip(NEXT) | instid1(VALU_DEP_1)
	v_mad_nc_u64_u32 v[4:5], v8, s4, v[4:5]
	v_mad_u32 v2, v2, s4, v5
	s_delay_alu instid0(VALU_DEP_2) | instskip(NEXT) | instid1(VALU_DEP_2)
	v_cvt_f64_u32_e32 v[6:7], v4
	v_mad_u32 v5, v8, s5, v2
                                        ; implicit-def: $vgpr8
	s_delay_alu instid0(VALU_DEP_1) | instskip(SKIP_1) | instid1(VALU_DEP_2)
	v_cvt_f64_u32_e32 v[2:3], v5
	v_cmp_lt_u64_e32 vcc_lo, 0x3fffffff, v[4:5]
                                        ; implicit-def: $vgpr4_vgpr5
	v_ldexp_f64 v[2:3], v[2:3], 32
	s_delay_alu instid0(VALU_DEP_1) | instskip(SKIP_1) | instid1(SALU_CYCLE_1)
	v_add_f64_e32 v[2:3], v[2:3], v[6:7]
                                        ; implicit-def: $vgpr6_vgpr7
	s_and_saveexec_b32 s0, vcc_lo
	s_xor_b32 s0, exec_lo, s0
	s_cbranch_execz .LBB92_11
; %bb.10:
	s_delay_alu instid0(VALU_DEP_1) | instskip(SKIP_3) | instid1(VALU_DEP_3)
	v_trig_preop_f64 v[4:5], v[2:3], 0
	v_trig_preop_f64 v[6:7], v[2:3], 1
	v_trig_preop_f64 v[16:17], v[2:3], 2
	s_mov_b64 s[2:3], 0x3ff921fb54442d18
	v_dual_mul_f64 v[8:9], v[4:5], v[2:3] :: v_dual_mov_b32 v24, 0
	s_delay_alu instid0(VALU_DEP_3) | instskip(NEXT) | instid1(VALU_DEP_3)
	v_mul_f64_e32 v[10:11], v[6:7], v[2:3]
	v_mul_f64_e32 v[22:23], v[16:17], v[2:3]
	s_delay_alu instid0(VALU_DEP_3) | instskip(NEXT) | instid1(VALU_DEP_3)
	v_fma_f64 v[4:5], v[4:5], v[2:3], -v[8:9]
	v_fma_f64 v[6:7], v[6:7], v[2:3], -v[10:11]
	s_delay_alu instid0(VALU_DEP_3) | instskip(NEXT) | instid1(VALU_DEP_3)
	v_fma_f64 v[2:3], v[16:17], v[2:3], -v[22:23]
	v_add_f64_e32 v[12:13], v[10:11], v[4:5]
	s_delay_alu instid0(VALU_DEP_1) | instskip(SKIP_1) | instid1(VALU_DEP_2)
	v_add_f64_e64 v[14:15], v[12:13], -v[10:11]
	v_add_f64_e32 v[20:21], v[8:9], v[12:13]
	v_add_f64_e64 v[18:19], v[12:13], -v[14:15]
	v_add_f64_e64 v[4:5], v[4:5], -v[14:15]
	s_delay_alu instid0(VALU_DEP_3) | instskip(NEXT) | instid1(VALU_DEP_3)
	v_ldexp_f64 v[14:15], v[20:21], -2
	v_add_f64_e64 v[10:11], v[10:11], -v[18:19]
	v_add_f64_e32 v[18:19], v[22:23], v[6:7]
	s_delay_alu instid0(VALU_DEP_3) | instskip(NEXT) | instid1(VALU_DEP_3)
	v_cmp_neq_f64_e64 vcc_lo, 0x7ff00000, |v[14:15]|
	v_add_f64_e32 v[4:5], v[4:5], v[10:11]
	v_fract_f64_e32 v[10:11], v[14:15]
	s_delay_alu instid0(VALU_DEP_1) | instskip(NEXT) | instid1(VALU_DEP_1)
	v_ldexp_f64 v[10:11], v[10:11], 2
	v_dual_add_f64 v[8:9], v[20:21], -v[8:9] :: v_dual_cndmask_b32 v10, 0, v10, vcc_lo
	s_delay_alu instid0(VALU_DEP_1) | instskip(SKIP_1) | instid1(VALU_DEP_1)
	v_dual_add_f64 v[8:9], v[12:13], -v[8:9] :: v_dual_cndmask_b32 v11, 0, v11, vcc_lo
	v_add_f64_e32 v[12:13], v[18:19], v[4:5]
	v_add_f64_e32 v[14:15], v[8:9], v[12:13]
	v_add_f64_e64 v[26:27], v[12:13], -v[18:19]
	s_delay_alu instid0(VALU_DEP_2) | instskip(NEXT) | instid1(VALU_DEP_2)
	v_add_f64_e32 v[20:21], v[14:15], v[10:11]
	v_add_f64_e64 v[32:33], v[12:13], -v[26:27]
	v_add_f64_e64 v[4:5], v[4:5], -v[26:27]
	;; [unrolled: 1-line block ×3, first 2 shown]
	s_delay_alu instid0(VALU_DEP_4) | instskip(SKIP_1) | instid1(VALU_DEP_3)
	v_cmp_gt_f64_e32 vcc_lo, 0, v[20:21]
	v_add_f64_e64 v[20:21], v[18:19], -v[22:23]
	v_add_f64_e64 v[8:9], v[12:13], -v[8:9]
	v_cndmask_b32_e64 v25, 0, 0x40100000, vcc_lo
	s_delay_alu instid0(VALU_DEP_3) | instskip(SKIP_2) | instid1(VALU_DEP_4)
	v_add_f64_e64 v[30:31], v[18:19], -v[20:21]
	v_add_f64_e64 v[6:7], v[6:7], -v[20:21]
	;; [unrolled: 1-line block ×3, first 2 shown]
	v_add_f64_e32 v[10:11], v[10:11], v[24:25]
	s_delay_alu instid0(VALU_DEP_4) | instskip(NEXT) | instid1(VALU_DEP_3)
	v_add_f64_e64 v[20:21], v[22:23], -v[30:31]
	v_add_f64_e32 v[4:5], v[4:5], v[18:19]
	s_delay_alu instid0(VALU_DEP_3) | instskip(NEXT) | instid1(VALU_DEP_3)
	v_add_f64_e32 v[28:29], v[14:15], v[10:11]
	v_add_f64_e32 v[6:7], v[6:7], v[20:21]
	s_delay_alu instid0(VALU_DEP_2) | instskip(NEXT) | instid1(VALU_DEP_2)
	v_cvt_i32_f64_e32 v25, v[28:29]
	v_add_f64_e32 v[4:5], v[6:7], v[4:5]
	s_delay_alu instid0(VALU_DEP_2) | instskip(NEXT) | instid1(VALU_DEP_2)
	v_cvt_f64_i32_e32 v[26:27], v25
	v_add_f64_e32 v[2:3], v[2:3], v[4:5]
	s_delay_alu instid0(VALU_DEP_2) | instskip(NEXT) | instid1(VALU_DEP_2)
	v_add_f64_e64 v[10:11], v[10:11], -v[26:27]
	v_add_f64_e32 v[2:3], v[8:9], v[2:3]
	s_delay_alu instid0(VALU_DEP_2) | instskip(NEXT) | instid1(VALU_DEP_1)
	v_add_f64_e32 v[6:7], v[14:15], v[10:11]
	v_add_f64_e64 v[4:5], v[6:7], -v[10:11]
	v_cmp_le_f64_e32 vcc_lo, 0.5, v[6:7]
	s_delay_alu instid0(VALU_DEP_2) | instskip(SKIP_2) | instid1(VALU_DEP_3)
	v_add_f64_e64 v[4:5], v[14:15], -v[4:5]
	v_add_co_ci_u32_e64 v8, null, 0, v25, vcc_lo
	v_cndmask_b32_e64 v25, 0, 0x3ff00000, vcc_lo
	v_add_f64_e32 v[2:3], v[2:3], v[4:5]
	s_delay_alu instid0(VALU_DEP_2) | instskip(NEXT) | instid1(VALU_DEP_1)
	v_add_f64_e64 v[4:5], v[6:7], -v[24:25]
	v_add_f64_e32 v[6:7], v[4:5], v[2:3]
	s_delay_alu instid0(VALU_DEP_1) | instskip(SKIP_1) | instid1(VALU_DEP_2)
	v_mul_f64_e32 v[10:11], 0x3ff921fb54442d18, v[6:7]
	v_add_f64_e64 v[4:5], v[6:7], -v[4:5]
	v_fma_f64 v[12:13], v[6:7], s[2:3], -v[10:11]
	s_delay_alu instid0(VALU_DEP_2) | instskip(NEXT) | instid1(VALU_DEP_2)
	v_add_f64_e64 v[2:3], v[2:3], -v[4:5]
	v_fmamk_f64 v[6:7], v[6:7], 0x3c91a62633145c07, v[12:13]
	s_delay_alu instid0(VALU_DEP_1) | instskip(NEXT) | instid1(VALU_DEP_1)
	v_fmac_f64_e32 v[6:7], 0x3ff921fb54442d18, v[2:3]
	v_add_f64_e32 v[4:5], v[10:11], v[6:7]
	s_delay_alu instid0(VALU_DEP_1) | instskip(NEXT) | instid1(VALU_DEP_1)
	v_add_f64_e64 v[2:3], v[4:5], -v[10:11]
	v_add_f64_e64 v[6:7], v[6:7], -v[2:3]
                                        ; implicit-def: $vgpr2_vgpr3
.LBB92_11:
	s_and_not1_saveexec_b32 s0, s0
	s_cbranch_execz .LBB92_13
; %bb.12:
	s_delay_alu instid0(VALU_DEP_1) | instskip(NEXT) | instid1(VALU_DEP_1)
	v_mul_f64_e32 v[4:5], 0x3fe45f306dc9c883, v[2:3]
	v_rndne_f64_e32 v[8:9], v[4:5]
	s_delay_alu instid0(VALU_DEP_1) | instskip(SKIP_1) | instid1(VALU_DEP_1)
	v_mul_f64_e32 v[4:5], 0xbc91a62633145c00, v[8:9]
	v_fmamk_f64 v[2:3], v[8:9], 0xbff921fb54442d18, v[2:3]
	v_add_f64_e32 v[6:7], v[2:3], v[4:5]
	s_delay_alu instid0(VALU_DEP_1) | instskip(SKIP_1) | instid1(VALU_DEP_1)
	v_add_f64_e64 v[10:11], v[2:3], -v[6:7]
	v_fmamk_f64 v[2:3], v[8:9], 0xbc91a62633145c00, v[2:3]
	v_add_f64_e64 v[6:7], v[6:7], -v[2:3]
	s_delay_alu instid0(VALU_DEP_3) | instskip(SKIP_1) | instid1(VALU_DEP_2)
	v_add_f64_e32 v[10:11], v[10:11], v[4:5]
	v_fmamk_f64 v[4:5], v[8:9], 0x3c91a62633145c00, v[4:5]
	v_add_f64_e32 v[6:7], v[6:7], v[10:11]
	s_delay_alu instid0(VALU_DEP_1) | instskip(NEXT) | instid1(VALU_DEP_1)
	v_add_f64_e64 v[4:5], v[6:7], -v[4:5]
	v_fmamk_f64 v[6:7], v[8:9], 0xb97b839a252049c0, v[4:5]
	v_cvt_i32_f64_e32 v8, v[8:9]
	s_delay_alu instid0(VALU_DEP_2) | instskip(NEXT) | instid1(VALU_DEP_1)
	v_add_f64_e32 v[4:5], v[2:3], v[6:7]
	v_add_f64_e64 v[2:3], v[4:5], -v[2:3]
	s_delay_alu instid0(VALU_DEP_1)
	v_add_f64_e64 v[6:7], v[6:7], -v[2:3]
.LBB92_13:
	s_or_b32 exec_lo, exec_lo, s0
	v_mul_f64_e32 v[2:3], v[4:5], v[4:5]
	s_delay_alu instid0(VALU_DEP_2) | instskip(SKIP_2) | instid1(VALU_DEP_3)
	v_mul_f64_e32 v[16:17], 0.5, v[6:7]
	s_mov_b64 s[0:1], 0x3de5e0b2f9a43bb8
	v_lshl_add_u64 v[0:1], v[0:1], 2, s[12:13]
	v_mul_f64_e32 v[10:11], 0.5, v[2:3]
	v_mul_f64_e64 v[18:19], v[4:5], -v[2:3]
	v_fmaak_f64 v[20:21], s[0:1], v[2:3], 0xbe5ae600b42fdfa7
	s_mov_b64 s[0:1], 0xbda907db46cc5e42
	s_delay_alu instid0(VALU_DEP_1) | instskip(NEXT) | instid1(VALU_DEP_4)
	v_fmaak_f64 v[20:21], v[2:3], v[20:21], 0x3ec71de3796cde01
	v_add_f64_e64 v[12:13], -v[10:11], 1.0
	s_delay_alu instid0(VALU_DEP_1) | instskip(NEXT) | instid1(VALU_DEP_1)
	v_add_f64_e64 v[14:15], -v[12:13], 1.0
	v_add_f64_e64 v[10:11], v[14:15], -v[10:11]
	s_delay_alu instid0(VALU_DEP_4) | instskip(SKIP_1) | instid1(VALU_DEP_2)
	v_fmaak_f64 v[14:15], v[2:3], v[20:21], 0xbf2a01a019e83e5c
	v_mul_f64_e32 v[20:21], v[2:3], v[2:3]
	v_fmaak_f64 v[14:15], v[2:3], v[14:15], 0x3f81111111110bb3
	s_delay_alu instid0(VALU_DEP_1) | instskip(SKIP_1) | instid1(VALU_DEP_1)
	v_fmac_f64_e32 v[16:17], v[18:19], v[14:15]
	v_fmaak_f64 v[14:15], s[0:1], v[2:3], 0x3e21eeb69037ab78
	v_fmaak_f64 v[14:15], v[2:3], v[14:15], 0xbe927e4fa17f65f6
	s_delay_alu instid0(VALU_DEP_1) | instskip(SKIP_1) | instid1(VALU_DEP_2)
	v_fmaak_f64 v[14:15], v[2:3], v[14:15], 0x3efa01a019f4ec90
	v_fma_f64 v[10:11], v[4:5], -v[6:7], v[10:11]
	v_fmaak_f64 v[14:15], v[2:3], v[14:15], 0xbf56c16c16c16967
	v_fma_f64 v[6:7], v[2:3], v[16:17], -v[6:7]
	s_delay_alu instid0(VALU_DEP_2) | instskip(NEXT) | instid1(VALU_DEP_1)
	v_fmaak_f64 v[2:3], v[2:3], v[14:15], 0x3fa5555555555555
	v_fmac_f64_e32 v[10:11], v[20:21], v[2:3]
	s_delay_alu instid0(VALU_DEP_3) | instskip(SKIP_1) | instid1(VALU_DEP_1)
	v_fmamk_f64 v[2:3], v[18:19], 0xbfc5555555555555, v[6:7]
	v_and_b32_e32 v6, 1, v8
	v_cmp_eq_u32_e32 vcc_lo, 0, v6
	s_delay_alu instid0(VALU_DEP_3) | instskip(SKIP_1) | instid1(VALU_DEP_2)
	v_add_f64_e64 v[2:3], v[4:5], -v[2:3]
	v_add_f64_e32 v[4:5], v[12:13], v[10:11]
	v_xor_b32_e32 v3, 0x80000000, v3
	s_delay_alu instid0(VALU_DEP_1) | instskip(SKIP_1) | instid1(VALU_DEP_1)
	v_dual_cndmask_b32 v2, v2, v4 :: v_dual_cndmask_b32 v3, v3, v5
	v_lshlrev_b32_e32 v4, 30, v8
	v_bitop3_b32 v3, v3, v4, 0x80000000 bitop3:0x78
	s_delay_alu instid0(VALU_DEP_1)
	v_cvt_i32_f64_e32 v2, v[2:3]
	global_store_b32 v[0:1], v2, off
.LBB92_14:
	s_endpgm
	.section	.rodata,"a",@progbits
	.p2align	6, 0x0
	.amdhsa_kernel _Z11fill_kernelIiZ21hipblaslt_init_deviceIiEv8ABC_dims24hipblaslt_initializationbPT_mmmmmEUlmE3_EvS4_mmT0_
		.amdhsa_group_segment_fixed_size 0
		.amdhsa_private_segment_fixed_size 0
		.amdhsa_kernarg_size 312
		.amdhsa_user_sgpr_count 2
		.amdhsa_user_sgpr_dispatch_ptr 0
		.amdhsa_user_sgpr_queue_ptr 0
		.amdhsa_user_sgpr_kernarg_segment_ptr 1
		.amdhsa_user_sgpr_dispatch_id 0
		.amdhsa_user_sgpr_kernarg_preload_length 0
		.amdhsa_user_sgpr_kernarg_preload_offset 0
		.amdhsa_user_sgpr_private_segment_size 0
		.amdhsa_wavefront_size32 1
		.amdhsa_uses_dynamic_stack 0
		.amdhsa_enable_private_segment 0
		.amdhsa_system_sgpr_workgroup_id_x 1
		.amdhsa_system_sgpr_workgroup_id_y 0
		.amdhsa_system_sgpr_workgroup_id_z 0
		.amdhsa_system_sgpr_workgroup_info 0
		.amdhsa_system_vgpr_workitem_id 0
		.amdhsa_next_free_vgpr 34
		.amdhsa_next_free_sgpr 24
		.amdhsa_named_barrier_count 0
		.amdhsa_reserve_vcc 1
		.amdhsa_float_round_mode_32 0
		.amdhsa_float_round_mode_16_64 0
		.amdhsa_float_denorm_mode_32 3
		.amdhsa_float_denorm_mode_16_64 3
		.amdhsa_fp16_overflow 0
		.amdhsa_memory_ordered 1
		.amdhsa_forward_progress 1
		.amdhsa_inst_pref_size 22
		.amdhsa_round_robin_scheduling 0
		.amdhsa_exception_fp_ieee_invalid_op 0
		.amdhsa_exception_fp_denorm_src 0
		.amdhsa_exception_fp_ieee_div_zero 0
		.amdhsa_exception_fp_ieee_overflow 0
		.amdhsa_exception_fp_ieee_underflow 0
		.amdhsa_exception_fp_ieee_inexact 0
		.amdhsa_exception_int_div_zero 0
	.end_amdhsa_kernel
	.section	.text._Z11fill_kernelIiZ21hipblaslt_init_deviceIiEv8ABC_dims24hipblaslt_initializationbPT_mmmmmEUlmE3_EvS4_mmT0_,"axG",@progbits,_Z11fill_kernelIiZ21hipblaslt_init_deviceIiEv8ABC_dims24hipblaslt_initializationbPT_mmmmmEUlmE3_EvS4_mmT0_,comdat
.Lfunc_end92:
	.size	_Z11fill_kernelIiZ21hipblaslt_init_deviceIiEv8ABC_dims24hipblaslt_initializationbPT_mmmmmEUlmE3_EvS4_mmT0_, .Lfunc_end92-_Z11fill_kernelIiZ21hipblaslt_init_deviceIiEv8ABC_dims24hipblaslt_initializationbPT_mmmmmEUlmE3_EvS4_mmT0_
                                        ; -- End function
	.set _Z11fill_kernelIiZ21hipblaslt_init_deviceIiEv8ABC_dims24hipblaslt_initializationbPT_mmmmmEUlmE3_EvS4_mmT0_.num_vgpr, 34
	.set _Z11fill_kernelIiZ21hipblaslt_init_deviceIiEv8ABC_dims24hipblaslt_initializationbPT_mmmmmEUlmE3_EvS4_mmT0_.num_agpr, 0
	.set _Z11fill_kernelIiZ21hipblaslt_init_deviceIiEv8ABC_dims24hipblaslt_initializationbPT_mmmmmEUlmE3_EvS4_mmT0_.numbered_sgpr, 24
	.set _Z11fill_kernelIiZ21hipblaslt_init_deviceIiEv8ABC_dims24hipblaslt_initializationbPT_mmmmmEUlmE3_EvS4_mmT0_.num_named_barrier, 0
	.set _Z11fill_kernelIiZ21hipblaslt_init_deviceIiEv8ABC_dims24hipblaslt_initializationbPT_mmmmmEUlmE3_EvS4_mmT0_.private_seg_size, 0
	.set _Z11fill_kernelIiZ21hipblaslt_init_deviceIiEv8ABC_dims24hipblaslt_initializationbPT_mmmmmEUlmE3_EvS4_mmT0_.uses_vcc, 1
	.set _Z11fill_kernelIiZ21hipblaslt_init_deviceIiEv8ABC_dims24hipblaslt_initializationbPT_mmmmmEUlmE3_EvS4_mmT0_.uses_flat_scratch, 0
	.set _Z11fill_kernelIiZ21hipblaslt_init_deviceIiEv8ABC_dims24hipblaslt_initializationbPT_mmmmmEUlmE3_EvS4_mmT0_.has_dyn_sized_stack, 0
	.set _Z11fill_kernelIiZ21hipblaslt_init_deviceIiEv8ABC_dims24hipblaslt_initializationbPT_mmmmmEUlmE3_EvS4_mmT0_.has_recursion, 0
	.set _Z11fill_kernelIiZ21hipblaslt_init_deviceIiEv8ABC_dims24hipblaslt_initializationbPT_mmmmmEUlmE3_EvS4_mmT0_.has_indirect_call, 0
	.section	.AMDGPU.csdata,"",@progbits
; Kernel info:
; codeLenInByte = 2752
; TotalNumSgprs: 26
; NumVgprs: 34
; ScratchSize: 0
; MemoryBound: 0
; FloatMode: 240
; IeeeMode: 1
; LDSByteSize: 0 bytes/workgroup (compile time only)
; SGPRBlocks: 0
; VGPRBlocks: 2
; NumSGPRsForWavesPerEU: 26
; NumVGPRsForWavesPerEU: 34
; NamedBarCnt: 0
; Occupancy: 16
; WaveLimiterHint : 0
; COMPUTE_PGM_RSRC2:SCRATCH_EN: 0
; COMPUTE_PGM_RSRC2:USER_SGPR: 2
; COMPUTE_PGM_RSRC2:TRAP_HANDLER: 0
; COMPUTE_PGM_RSRC2:TGID_X_EN: 1
; COMPUTE_PGM_RSRC2:TGID_Y_EN: 0
; COMPUTE_PGM_RSRC2:TGID_Z_EN: 0
; COMPUTE_PGM_RSRC2:TIDIG_COMP_CNT: 0
	.section	.text._Z11fill_kernelIiZ21hipblaslt_init_deviceIiEv8ABC_dims24hipblaslt_initializationbPT_mmmmmEUlmE4_EvS4_mmT0_,"axG",@progbits,_Z11fill_kernelIiZ21hipblaslt_init_deviceIiEv8ABC_dims24hipblaslt_initializationbPT_mmmmmEUlmE4_EvS4_mmT0_,comdat
	.protected	_Z11fill_kernelIiZ21hipblaslt_init_deviceIiEv8ABC_dims24hipblaslt_initializationbPT_mmmmmEUlmE4_EvS4_mmT0_ ; -- Begin function _Z11fill_kernelIiZ21hipblaslt_init_deviceIiEv8ABC_dims24hipblaslt_initializationbPT_mmmmmEUlmE4_EvS4_mmT0_
	.globl	_Z11fill_kernelIiZ21hipblaslt_init_deviceIiEv8ABC_dims24hipblaslt_initializationbPT_mmmmmEUlmE4_EvS4_mmT0_
	.p2align	8
	.type	_Z11fill_kernelIiZ21hipblaslt_init_deviceIiEv8ABC_dims24hipblaslt_initializationbPT_mmmmmEUlmE4_EvS4_mmT0_,@function
_Z11fill_kernelIiZ21hipblaslt_init_deviceIiEv8ABC_dims24hipblaslt_initializationbPT_mmmmmEUlmE4_EvS4_mmT0_: ; @_Z11fill_kernelIiZ21hipblaslt_init_deviceIiEv8ABC_dims24hipblaslt_initializationbPT_mmmmmEUlmE4_EvS4_mmT0_
; %bb.0:
	s_clause 0x1
	s_load_b32 s2, s[0:1], 0x2c
	s_load_b128 s[4:7], s[0:1], 0x0
	s_bfe_u32 s3, ttmp6, 0x4000c
	s_and_b32 s8, ttmp6, 15
	s_add_co_i32 s3, s3, 1
	s_getreg_b32 s9, hwreg(HW_REG_IB_STS2, 6, 4)
	s_mul_i32 s3, ttmp9, s3
	v_mov_b32_e32 v1, 0
	s_add_co_i32 s8, s8, s3
	s_wait_kmcnt 0x0
	s_and_b32 s2, s2, 0xffff
	s_cmp_eq_u32 s9, 0
	s_cselect_b32 s3, ttmp9, s8
	s_delay_alu instid0(SALU_CYCLE_1) | instskip(SKIP_1) | instid1(VALU_DEP_1)
	v_mad_u32 v0, s3, s2, v0
	s_mov_b32 s2, exec_lo
	v_cmpx_gt_u64_e64 s[6:7], v[0:1]
	s_cbranch_execz .LBB93_2
; %bb.1:
	s_load_b64 s[0:1], s[0:1], 0x10
	s_wait_kmcnt 0x0
	v_add_nc_u64_e32 v[0:1], s[0:1], v[0:1]
	s_mov_b32 s0, 0x19660d
	s_delay_alu instid0(VALU_DEP_1) | instid1(SALU_CYCLE_1)
	v_mad_nc_u64_u32 v[2:3], v0, s0, 0x3c6ef35f
	s_mov_b64 s[0:1], 0x41efffffffe00000
	s_delay_alu instid0(VALU_DEP_1) | instskip(SKIP_1) | instid1(VALU_DEP_2)
	v_mad_u32 v3, 0x19660d, v1, v3
	v_lshl_add_u64 v[0:1], v[0:1], 2, s[4:5]
	v_lshlrev_b64_e32 v[4:5], 13, v[2:3]
	s_delay_alu instid0(VALU_DEP_1) | instskip(NEXT) | instid1(VALU_DEP_2)
	v_xor_b32_e32 v3, v5, v3
	v_xor_b32_e32 v2, v4, v2
	s_delay_alu instid0(VALU_DEP_1) | instskip(NEXT) | instid1(VALU_DEP_1)
	v_lshrrev_b64 v[4:5], 17, v[2:3]
	v_xor_b32_e32 v3, v5, v3
	s_delay_alu instid0(VALU_DEP_2) | instskip(NEXT) | instid1(VALU_DEP_1)
	v_xor_b32_e32 v2, v4, v2
	v_lshlrev_b64_e32 v[4:5], 5, v[2:3]
	s_delay_alu instid0(VALU_DEP_1) | instskip(NEXT) | instid1(VALU_DEP_2)
	v_xor_b32_e32 v3, v5, v3
	v_xor_b32_e32 v2, v4, v2
	s_delay_alu instid0(VALU_DEP_1) | instskip(NEXT) | instid1(VALU_DEP_1)
	v_lshlrev_b64_e32 v[4:5], 13, v[2:3]
	v_xor_b32_e32 v3, v5, v3
	s_delay_alu instid0(VALU_DEP_2) | instskip(NEXT) | instid1(VALU_DEP_1)
	v_xor_b32_e32 v2, v4, v2
	v_lshrrev_b64 v[4:5], 17, v[2:3]
	s_delay_alu instid0(VALU_DEP_1) | instskip(NEXT) | instid1(VALU_DEP_2)
	v_xor_b32_e32 v3, v5, v3
	v_xor_b32_e32 v2, v4, v2
	s_delay_alu instid0(VALU_DEP_1) | instskip(NEXT) | instid1(VALU_DEP_1)
	v_lshlrev_b64_e32 v[4:5], 5, v[2:3]
	v_xor_b32_e32 v3, v5, v3
	s_delay_alu instid0(VALU_DEP_2) | instskip(NEXT) | instid1(VALU_DEP_1)
	v_xor_b32_e32 v2, v4, v2
	v_lshlrev_b64_e32 v[4:5], 13, v[2:3]
	s_delay_alu instid0(VALU_DEP_1) | instskip(NEXT) | instid1(VALU_DEP_2)
	v_xor_b32_e32 v3, v5, v3
	v_xor_b32_e32 v2, v4, v2
	s_delay_alu instid0(VALU_DEP_1) | instskip(NEXT) | instid1(VALU_DEP_1)
	v_alignbit_b32 v3, v3, v2, 17
	v_xor_b32_e32 v2, v3, v2
	s_delay_alu instid0(VALU_DEP_1) | instskip(NEXT) | instid1(VALU_DEP_1)
	v_lshlrev_b32_e32 v3, 5, v2
	v_xor_b32_e32 v2, v3, v2
	s_delay_alu instid0(VALU_DEP_1) | instskip(NEXT) | instid1(VALU_DEP_1)
	v_cvt_f64_u32_e32 v[2:3], v2
	v_div_scale_f64 v[4:5], null, s[0:1], s[0:1], v[2:3]
	s_delay_alu instid0(VALU_DEP_1) | instskip(SKIP_1) | instid1(TRANS32_DEP_1)
	v_rcp_f64_e32 v[6:7], v[4:5]
	v_nop
	v_fma_f64 v[8:9], -v[4:5], v[6:7], 1.0
	s_delay_alu instid0(VALU_DEP_1) | instskip(NEXT) | instid1(VALU_DEP_1)
	v_fmac_f64_e32 v[6:7], v[6:7], v[8:9]
	v_fma_f64 v[8:9], -v[4:5], v[6:7], 1.0
	s_delay_alu instid0(VALU_DEP_1) | instskip(SKIP_1) | instid1(VALU_DEP_1)
	v_fmac_f64_e32 v[6:7], v[6:7], v[8:9]
	v_div_scale_f64 v[8:9], vcc_lo, v[2:3], s[0:1], v[2:3]
	v_mul_f64_e32 v[10:11], v[8:9], v[6:7]
	s_delay_alu instid0(VALU_DEP_1) | instskip(NEXT) | instid1(VALU_DEP_1)
	v_fma_f64 v[4:5], -v[4:5], v[10:11], v[8:9]
	v_div_fmas_f64 v[4:5], v[4:5], v[6:7], v[10:11]
	s_delay_alu instid0(VALU_DEP_1) | instskip(NEXT) | instid1(VALU_DEP_1)
	v_div_fixup_f64 v[2:3], v[4:5], s[0:1], v[2:3]
	v_add_f64_e32 v[2:3], -0.5, v[2:3]
	s_delay_alu instid0(VALU_DEP_1)
	v_cvt_i32_f64_e32 v2, v[2:3]
	global_store_b32 v[0:1], v2, off
.LBB93_2:
	s_endpgm
	.section	.rodata,"a",@progbits
	.p2align	6, 0x0
	.amdhsa_kernel _Z11fill_kernelIiZ21hipblaslt_init_deviceIiEv8ABC_dims24hipblaslt_initializationbPT_mmmmmEUlmE4_EvS4_mmT0_
		.amdhsa_group_segment_fixed_size 0
		.amdhsa_private_segment_fixed_size 0
		.amdhsa_kernarg_size 288
		.amdhsa_user_sgpr_count 2
		.amdhsa_user_sgpr_dispatch_ptr 0
		.amdhsa_user_sgpr_queue_ptr 0
		.amdhsa_user_sgpr_kernarg_segment_ptr 1
		.amdhsa_user_sgpr_dispatch_id 0
		.amdhsa_user_sgpr_kernarg_preload_length 0
		.amdhsa_user_sgpr_kernarg_preload_offset 0
		.amdhsa_user_sgpr_private_segment_size 0
		.amdhsa_wavefront_size32 1
		.amdhsa_uses_dynamic_stack 0
		.amdhsa_enable_private_segment 0
		.amdhsa_system_sgpr_workgroup_id_x 1
		.amdhsa_system_sgpr_workgroup_id_y 0
		.amdhsa_system_sgpr_workgroup_id_z 0
		.amdhsa_system_sgpr_workgroup_info 0
		.amdhsa_system_vgpr_workitem_id 0
		.amdhsa_next_free_vgpr 12
		.amdhsa_next_free_sgpr 10
		.amdhsa_named_barrier_count 0
		.amdhsa_reserve_vcc 1
		.amdhsa_float_round_mode_32 0
		.amdhsa_float_round_mode_16_64 0
		.amdhsa_float_denorm_mode_32 3
		.amdhsa_float_denorm_mode_16_64 3
		.amdhsa_fp16_overflow 0
		.amdhsa_memory_ordered 1
		.amdhsa_forward_progress 1
		.amdhsa_inst_pref_size 4
		.amdhsa_round_robin_scheduling 0
		.amdhsa_exception_fp_ieee_invalid_op 0
		.amdhsa_exception_fp_denorm_src 0
		.amdhsa_exception_fp_ieee_div_zero 0
		.amdhsa_exception_fp_ieee_overflow 0
		.amdhsa_exception_fp_ieee_underflow 0
		.amdhsa_exception_fp_ieee_inexact 0
		.amdhsa_exception_int_div_zero 0
	.end_amdhsa_kernel
	.section	.text._Z11fill_kernelIiZ21hipblaslt_init_deviceIiEv8ABC_dims24hipblaslt_initializationbPT_mmmmmEUlmE4_EvS4_mmT0_,"axG",@progbits,_Z11fill_kernelIiZ21hipblaslt_init_deviceIiEv8ABC_dims24hipblaslt_initializationbPT_mmmmmEUlmE4_EvS4_mmT0_,comdat
.Lfunc_end93:
	.size	_Z11fill_kernelIiZ21hipblaslt_init_deviceIiEv8ABC_dims24hipblaslt_initializationbPT_mmmmmEUlmE4_EvS4_mmT0_, .Lfunc_end93-_Z11fill_kernelIiZ21hipblaslt_init_deviceIiEv8ABC_dims24hipblaslt_initializationbPT_mmmmmEUlmE4_EvS4_mmT0_
                                        ; -- End function
	.set _Z11fill_kernelIiZ21hipblaslt_init_deviceIiEv8ABC_dims24hipblaslt_initializationbPT_mmmmmEUlmE4_EvS4_mmT0_.num_vgpr, 12
	.set _Z11fill_kernelIiZ21hipblaslt_init_deviceIiEv8ABC_dims24hipblaslt_initializationbPT_mmmmmEUlmE4_EvS4_mmT0_.num_agpr, 0
	.set _Z11fill_kernelIiZ21hipblaslt_init_deviceIiEv8ABC_dims24hipblaslt_initializationbPT_mmmmmEUlmE4_EvS4_mmT0_.numbered_sgpr, 10
	.set _Z11fill_kernelIiZ21hipblaslt_init_deviceIiEv8ABC_dims24hipblaslt_initializationbPT_mmmmmEUlmE4_EvS4_mmT0_.num_named_barrier, 0
	.set _Z11fill_kernelIiZ21hipblaslt_init_deviceIiEv8ABC_dims24hipblaslt_initializationbPT_mmmmmEUlmE4_EvS4_mmT0_.private_seg_size, 0
	.set _Z11fill_kernelIiZ21hipblaslt_init_deviceIiEv8ABC_dims24hipblaslt_initializationbPT_mmmmmEUlmE4_EvS4_mmT0_.uses_vcc, 1
	.set _Z11fill_kernelIiZ21hipblaslt_init_deviceIiEv8ABC_dims24hipblaslt_initializationbPT_mmmmmEUlmE4_EvS4_mmT0_.uses_flat_scratch, 0
	.set _Z11fill_kernelIiZ21hipblaslt_init_deviceIiEv8ABC_dims24hipblaslt_initializationbPT_mmmmmEUlmE4_EvS4_mmT0_.has_dyn_sized_stack, 0
	.set _Z11fill_kernelIiZ21hipblaslt_init_deviceIiEv8ABC_dims24hipblaslt_initializationbPT_mmmmmEUlmE4_EvS4_mmT0_.has_recursion, 0
	.set _Z11fill_kernelIiZ21hipblaslt_init_deviceIiEv8ABC_dims24hipblaslt_initializationbPT_mmmmmEUlmE4_EvS4_mmT0_.has_indirect_call, 0
	.section	.AMDGPU.csdata,"",@progbits
; Kernel info:
; codeLenInByte = 468
; TotalNumSgprs: 12
; NumVgprs: 12
; ScratchSize: 0
; MemoryBound: 0
; FloatMode: 240
; IeeeMode: 1
; LDSByteSize: 0 bytes/workgroup (compile time only)
; SGPRBlocks: 0
; VGPRBlocks: 0
; NumSGPRsForWavesPerEU: 12
; NumVGPRsForWavesPerEU: 12
; NamedBarCnt: 0
; Occupancy: 16
; WaveLimiterHint : 0
; COMPUTE_PGM_RSRC2:SCRATCH_EN: 0
; COMPUTE_PGM_RSRC2:USER_SGPR: 2
; COMPUTE_PGM_RSRC2:TRAP_HANDLER: 0
; COMPUTE_PGM_RSRC2:TGID_X_EN: 1
; COMPUTE_PGM_RSRC2:TGID_Y_EN: 0
; COMPUTE_PGM_RSRC2:TGID_Z_EN: 0
; COMPUTE_PGM_RSRC2:TIDIG_COMP_CNT: 0
	.section	.text._Z11fill_kernelIiZ21hipblaslt_init_deviceIiEv8ABC_dims24hipblaslt_initializationbPT_mmmmmEUlmE5_EvS4_mmT0_,"axG",@progbits,_Z11fill_kernelIiZ21hipblaslt_init_deviceIiEv8ABC_dims24hipblaslt_initializationbPT_mmmmmEUlmE5_EvS4_mmT0_,comdat
	.protected	_Z11fill_kernelIiZ21hipblaslt_init_deviceIiEv8ABC_dims24hipblaslt_initializationbPT_mmmmmEUlmE5_EvS4_mmT0_ ; -- Begin function _Z11fill_kernelIiZ21hipblaslt_init_deviceIiEv8ABC_dims24hipblaslt_initializationbPT_mmmmmEUlmE5_EvS4_mmT0_
	.globl	_Z11fill_kernelIiZ21hipblaslt_init_deviceIiEv8ABC_dims24hipblaslt_initializationbPT_mmmmmEUlmE5_EvS4_mmT0_
	.p2align	8
	.type	_Z11fill_kernelIiZ21hipblaslt_init_deviceIiEv8ABC_dims24hipblaslt_initializationbPT_mmmmmEUlmE5_EvS4_mmT0_,@function
_Z11fill_kernelIiZ21hipblaslt_init_deviceIiEv8ABC_dims24hipblaslt_initializationbPT_mmmmmEUlmE5_EvS4_mmT0_: ; @_Z11fill_kernelIiZ21hipblaslt_init_deviceIiEv8ABC_dims24hipblaslt_initializationbPT_mmmmmEUlmE5_EvS4_mmT0_
; %bb.0:
	s_clause 0x1
	s_load_b32 s2, s[0:1], 0x2c
	s_load_b128 s[4:7], s[0:1], 0x0
	s_bfe_u32 s3, ttmp6, 0x4000c
	s_and_b32 s8, ttmp6, 15
	s_add_co_i32 s3, s3, 1
	s_getreg_b32 s9, hwreg(HW_REG_IB_STS2, 6, 4)
	s_mul_i32 s3, ttmp9, s3
	v_mov_b32_e32 v1, 0
	s_add_co_i32 s8, s8, s3
	s_wait_kmcnt 0x0
	s_and_b32 s2, s2, 0xffff
	s_cmp_eq_u32 s9, 0
	s_cselect_b32 s3, ttmp9, s8
	s_delay_alu instid0(SALU_CYCLE_1) | instskip(SKIP_1) | instid1(VALU_DEP_1)
	v_mad_u32 v0, s3, s2, v0
	s_mov_b32 s2, exec_lo
	v_cmpx_gt_u64_e64 s[6:7], v[0:1]
	s_cbranch_execz .LBB94_2
; %bb.1:
	s_load_b64 s[0:1], s[0:1], 0x10
	v_mov_b32_e32 v2, 0xff00
	s_wait_kmcnt 0x0
	s_lshl_b64 s[0:1], s[0:1], 2
	s_delay_alu instid0(SALU_CYCLE_1) | instskip(NEXT) | instid1(SALU_CYCLE_1)
	s_add_nc_u64 s[0:1], s[4:5], s[0:1]
	v_lshl_add_u64 v[0:1], v[0:1], 2, s[0:1]
	global_store_b32 v[0:1], v2, off
.LBB94_2:
	s_endpgm
	.section	.rodata,"a",@progbits
	.p2align	6, 0x0
	.amdhsa_kernel _Z11fill_kernelIiZ21hipblaslt_init_deviceIiEv8ABC_dims24hipblaslt_initializationbPT_mmmmmEUlmE5_EvS4_mmT0_
		.amdhsa_group_segment_fixed_size 0
		.amdhsa_private_segment_fixed_size 0
		.amdhsa_kernarg_size 288
		.amdhsa_user_sgpr_count 2
		.amdhsa_user_sgpr_dispatch_ptr 0
		.amdhsa_user_sgpr_queue_ptr 0
		.amdhsa_user_sgpr_kernarg_segment_ptr 1
		.amdhsa_user_sgpr_dispatch_id 0
		.amdhsa_user_sgpr_kernarg_preload_length 0
		.amdhsa_user_sgpr_kernarg_preload_offset 0
		.amdhsa_user_sgpr_private_segment_size 0
		.amdhsa_wavefront_size32 1
		.amdhsa_uses_dynamic_stack 0
		.amdhsa_enable_private_segment 0
		.amdhsa_system_sgpr_workgroup_id_x 1
		.amdhsa_system_sgpr_workgroup_id_y 0
		.amdhsa_system_sgpr_workgroup_id_z 0
		.amdhsa_system_sgpr_workgroup_info 0
		.amdhsa_system_vgpr_workitem_id 0
		.amdhsa_next_free_vgpr 3
		.amdhsa_next_free_sgpr 10
		.amdhsa_named_barrier_count 0
		.amdhsa_reserve_vcc 0
		.amdhsa_float_round_mode_32 0
		.amdhsa_float_round_mode_16_64 0
		.amdhsa_float_denorm_mode_32 3
		.amdhsa_float_denorm_mode_16_64 3
		.amdhsa_fp16_overflow 0
		.amdhsa_memory_ordered 1
		.amdhsa_forward_progress 1
		.amdhsa_inst_pref_size 2
		.amdhsa_round_robin_scheduling 0
		.amdhsa_exception_fp_ieee_invalid_op 0
		.amdhsa_exception_fp_denorm_src 0
		.amdhsa_exception_fp_ieee_div_zero 0
		.amdhsa_exception_fp_ieee_overflow 0
		.amdhsa_exception_fp_ieee_underflow 0
		.amdhsa_exception_fp_ieee_inexact 0
		.amdhsa_exception_int_div_zero 0
	.end_amdhsa_kernel
	.section	.text._Z11fill_kernelIiZ21hipblaslt_init_deviceIiEv8ABC_dims24hipblaslt_initializationbPT_mmmmmEUlmE5_EvS4_mmT0_,"axG",@progbits,_Z11fill_kernelIiZ21hipblaslt_init_deviceIiEv8ABC_dims24hipblaslt_initializationbPT_mmmmmEUlmE5_EvS4_mmT0_,comdat
.Lfunc_end94:
	.size	_Z11fill_kernelIiZ21hipblaslt_init_deviceIiEv8ABC_dims24hipblaslt_initializationbPT_mmmmmEUlmE5_EvS4_mmT0_, .Lfunc_end94-_Z11fill_kernelIiZ21hipblaslt_init_deviceIiEv8ABC_dims24hipblaslt_initializationbPT_mmmmmEUlmE5_EvS4_mmT0_
                                        ; -- End function
	.set _Z11fill_kernelIiZ21hipblaslt_init_deviceIiEv8ABC_dims24hipblaslt_initializationbPT_mmmmmEUlmE5_EvS4_mmT0_.num_vgpr, 3
	.set _Z11fill_kernelIiZ21hipblaslt_init_deviceIiEv8ABC_dims24hipblaslt_initializationbPT_mmmmmEUlmE5_EvS4_mmT0_.num_agpr, 0
	.set _Z11fill_kernelIiZ21hipblaslt_init_deviceIiEv8ABC_dims24hipblaslt_initializationbPT_mmmmmEUlmE5_EvS4_mmT0_.numbered_sgpr, 10
	.set _Z11fill_kernelIiZ21hipblaslt_init_deviceIiEv8ABC_dims24hipblaslt_initializationbPT_mmmmmEUlmE5_EvS4_mmT0_.num_named_barrier, 0
	.set _Z11fill_kernelIiZ21hipblaslt_init_deviceIiEv8ABC_dims24hipblaslt_initializationbPT_mmmmmEUlmE5_EvS4_mmT0_.private_seg_size, 0
	.set _Z11fill_kernelIiZ21hipblaslt_init_deviceIiEv8ABC_dims24hipblaslt_initializationbPT_mmmmmEUlmE5_EvS4_mmT0_.uses_vcc, 0
	.set _Z11fill_kernelIiZ21hipblaslt_init_deviceIiEv8ABC_dims24hipblaslt_initializationbPT_mmmmmEUlmE5_EvS4_mmT0_.uses_flat_scratch, 0
	.set _Z11fill_kernelIiZ21hipblaslt_init_deviceIiEv8ABC_dims24hipblaslt_initializationbPT_mmmmmEUlmE5_EvS4_mmT0_.has_dyn_sized_stack, 0
	.set _Z11fill_kernelIiZ21hipblaslt_init_deviceIiEv8ABC_dims24hipblaslt_initializationbPT_mmmmmEUlmE5_EvS4_mmT0_.has_recursion, 0
	.set _Z11fill_kernelIiZ21hipblaslt_init_deviceIiEv8ABC_dims24hipblaslt_initializationbPT_mmmmmEUlmE5_EvS4_mmT0_.has_indirect_call, 0
	.section	.AMDGPU.csdata,"",@progbits
; Kernel info:
; codeLenInByte = 156
; TotalNumSgprs: 10
; NumVgprs: 3
; ScratchSize: 0
; MemoryBound: 0
; FloatMode: 240
; IeeeMode: 1
; LDSByteSize: 0 bytes/workgroup (compile time only)
; SGPRBlocks: 0
; VGPRBlocks: 0
; NumSGPRsForWavesPerEU: 10
; NumVGPRsForWavesPerEU: 3
; NamedBarCnt: 0
; Occupancy: 16
; WaveLimiterHint : 0
; COMPUTE_PGM_RSRC2:SCRATCH_EN: 0
; COMPUTE_PGM_RSRC2:USER_SGPR: 2
; COMPUTE_PGM_RSRC2:TRAP_HANDLER: 0
; COMPUTE_PGM_RSRC2:TGID_X_EN: 1
; COMPUTE_PGM_RSRC2:TGID_Y_EN: 0
; COMPUTE_PGM_RSRC2:TGID_Z_EN: 0
; COMPUTE_PGM_RSRC2:TIDIG_COMP_CNT: 0
	.section	.text._Z11fill_kernelIiZ21hipblaslt_init_deviceIiEv8ABC_dims24hipblaslt_initializationbPT_mmmmmEUlmE6_EvS4_mmT0_,"axG",@progbits,_Z11fill_kernelIiZ21hipblaslt_init_deviceIiEv8ABC_dims24hipblaslt_initializationbPT_mmmmmEUlmE6_EvS4_mmT0_,comdat
	.protected	_Z11fill_kernelIiZ21hipblaslt_init_deviceIiEv8ABC_dims24hipblaslt_initializationbPT_mmmmmEUlmE6_EvS4_mmT0_ ; -- Begin function _Z11fill_kernelIiZ21hipblaslt_init_deviceIiEv8ABC_dims24hipblaslt_initializationbPT_mmmmmEUlmE6_EvS4_mmT0_
	.globl	_Z11fill_kernelIiZ21hipblaslt_init_deviceIiEv8ABC_dims24hipblaslt_initializationbPT_mmmmmEUlmE6_EvS4_mmT0_
	.p2align	8
	.type	_Z11fill_kernelIiZ21hipblaslt_init_deviceIiEv8ABC_dims24hipblaslt_initializationbPT_mmmmmEUlmE6_EvS4_mmT0_,@function
_Z11fill_kernelIiZ21hipblaslt_init_deviceIiEv8ABC_dims24hipblaslt_initializationbPT_mmmmmEUlmE6_EvS4_mmT0_: ; @_Z11fill_kernelIiZ21hipblaslt_init_deviceIiEv8ABC_dims24hipblaslt_initializationbPT_mmmmmEUlmE6_EvS4_mmT0_
; %bb.0:
	s_clause 0x1
	s_load_b32 s2, s[0:1], 0x2c
	s_load_b128 s[4:7], s[0:1], 0x0
	s_bfe_u32 s3, ttmp6, 0x4000c
	s_and_b32 s8, ttmp6, 15
	s_add_co_i32 s3, s3, 1
	s_getreg_b32 s9, hwreg(HW_REG_IB_STS2, 6, 4)
	s_mul_i32 s3, ttmp9, s3
	v_mov_b32_e32 v1, 0
	s_add_co_i32 s8, s8, s3
	s_wait_kmcnt 0x0
	s_and_b32 s2, s2, 0xffff
	s_cmp_eq_u32 s9, 0
	s_cselect_b32 s3, ttmp9, s8
	s_delay_alu instid0(SALU_CYCLE_1) | instskip(SKIP_1) | instid1(VALU_DEP_1)
	v_mad_u32 v0, s3, s2, v0
	s_mov_b32 s2, exec_lo
	v_cmpx_gt_u64_e64 s[6:7], v[0:1]
	s_cbranch_execz .LBB95_2
; %bb.1:
	s_load_b64 s[0:1], s[0:1], 0x10
	s_wait_kmcnt 0x0
	s_lshl_b64 s[0:1], s[0:1], 2
	s_delay_alu instid0(SALU_CYCLE_1) | instskip(NEXT) | instid1(SALU_CYCLE_1)
	s_add_nc_u64 s[0:1], s[4:5], s[0:1]
	v_lshl_add_u64 v[2:3], v[0:1], 2, s[0:1]
	global_store_b32 v[2:3], v1, off
.LBB95_2:
	s_endpgm
	.section	.rodata,"a",@progbits
	.p2align	6, 0x0
	.amdhsa_kernel _Z11fill_kernelIiZ21hipblaslt_init_deviceIiEv8ABC_dims24hipblaslt_initializationbPT_mmmmmEUlmE6_EvS4_mmT0_
		.amdhsa_group_segment_fixed_size 0
		.amdhsa_private_segment_fixed_size 0
		.amdhsa_kernarg_size 288
		.amdhsa_user_sgpr_count 2
		.amdhsa_user_sgpr_dispatch_ptr 0
		.amdhsa_user_sgpr_queue_ptr 0
		.amdhsa_user_sgpr_kernarg_segment_ptr 1
		.amdhsa_user_sgpr_dispatch_id 0
		.amdhsa_user_sgpr_kernarg_preload_length 0
		.amdhsa_user_sgpr_kernarg_preload_offset 0
		.amdhsa_user_sgpr_private_segment_size 0
		.amdhsa_wavefront_size32 1
		.amdhsa_uses_dynamic_stack 0
		.amdhsa_enable_private_segment 0
		.amdhsa_system_sgpr_workgroup_id_x 1
		.amdhsa_system_sgpr_workgroup_id_y 0
		.amdhsa_system_sgpr_workgroup_id_z 0
		.amdhsa_system_sgpr_workgroup_info 0
		.amdhsa_system_vgpr_workitem_id 0
		.amdhsa_next_free_vgpr 4
		.amdhsa_next_free_sgpr 10
		.amdhsa_named_barrier_count 0
		.amdhsa_reserve_vcc 0
		.amdhsa_float_round_mode_32 0
		.amdhsa_float_round_mode_16_64 0
		.amdhsa_float_denorm_mode_32 3
		.amdhsa_float_denorm_mode_16_64 3
		.amdhsa_fp16_overflow 0
		.amdhsa_memory_ordered 1
		.amdhsa_forward_progress 1
		.amdhsa_inst_pref_size 2
		.amdhsa_round_robin_scheduling 0
		.amdhsa_exception_fp_ieee_invalid_op 0
		.amdhsa_exception_fp_denorm_src 0
		.amdhsa_exception_fp_ieee_div_zero 0
		.amdhsa_exception_fp_ieee_overflow 0
		.amdhsa_exception_fp_ieee_underflow 0
		.amdhsa_exception_fp_ieee_inexact 0
		.amdhsa_exception_int_div_zero 0
	.end_amdhsa_kernel
	.section	.text._Z11fill_kernelIiZ21hipblaslt_init_deviceIiEv8ABC_dims24hipblaslt_initializationbPT_mmmmmEUlmE6_EvS4_mmT0_,"axG",@progbits,_Z11fill_kernelIiZ21hipblaslt_init_deviceIiEv8ABC_dims24hipblaslt_initializationbPT_mmmmmEUlmE6_EvS4_mmT0_,comdat
.Lfunc_end95:
	.size	_Z11fill_kernelIiZ21hipblaslt_init_deviceIiEv8ABC_dims24hipblaslt_initializationbPT_mmmmmEUlmE6_EvS4_mmT0_, .Lfunc_end95-_Z11fill_kernelIiZ21hipblaslt_init_deviceIiEv8ABC_dims24hipblaslt_initializationbPT_mmmmmEUlmE6_EvS4_mmT0_
                                        ; -- End function
	.set _Z11fill_kernelIiZ21hipblaslt_init_deviceIiEv8ABC_dims24hipblaslt_initializationbPT_mmmmmEUlmE6_EvS4_mmT0_.num_vgpr, 4
	.set _Z11fill_kernelIiZ21hipblaslt_init_deviceIiEv8ABC_dims24hipblaslt_initializationbPT_mmmmmEUlmE6_EvS4_mmT0_.num_agpr, 0
	.set _Z11fill_kernelIiZ21hipblaslt_init_deviceIiEv8ABC_dims24hipblaslt_initializationbPT_mmmmmEUlmE6_EvS4_mmT0_.numbered_sgpr, 10
	.set _Z11fill_kernelIiZ21hipblaslt_init_deviceIiEv8ABC_dims24hipblaslt_initializationbPT_mmmmmEUlmE6_EvS4_mmT0_.num_named_barrier, 0
	.set _Z11fill_kernelIiZ21hipblaslt_init_deviceIiEv8ABC_dims24hipblaslt_initializationbPT_mmmmmEUlmE6_EvS4_mmT0_.private_seg_size, 0
	.set _Z11fill_kernelIiZ21hipblaslt_init_deviceIiEv8ABC_dims24hipblaslt_initializationbPT_mmmmmEUlmE6_EvS4_mmT0_.uses_vcc, 0
	.set _Z11fill_kernelIiZ21hipblaslt_init_deviceIiEv8ABC_dims24hipblaslt_initializationbPT_mmmmmEUlmE6_EvS4_mmT0_.uses_flat_scratch, 0
	.set _Z11fill_kernelIiZ21hipblaslt_init_deviceIiEv8ABC_dims24hipblaslt_initializationbPT_mmmmmEUlmE6_EvS4_mmT0_.has_dyn_sized_stack, 0
	.set _Z11fill_kernelIiZ21hipblaslt_init_deviceIiEv8ABC_dims24hipblaslt_initializationbPT_mmmmmEUlmE6_EvS4_mmT0_.has_recursion, 0
	.set _Z11fill_kernelIiZ21hipblaslt_init_deviceIiEv8ABC_dims24hipblaslt_initializationbPT_mmmmmEUlmE6_EvS4_mmT0_.has_indirect_call, 0
	.section	.AMDGPU.csdata,"",@progbits
; Kernel info:
; codeLenInByte = 148
; TotalNumSgprs: 10
; NumVgprs: 4
; ScratchSize: 0
; MemoryBound: 0
; FloatMode: 240
; IeeeMode: 1
; LDSByteSize: 0 bytes/workgroup (compile time only)
; SGPRBlocks: 0
; VGPRBlocks: 0
; NumSGPRsForWavesPerEU: 10
; NumVGPRsForWavesPerEU: 4
; NamedBarCnt: 0
; Occupancy: 16
; WaveLimiterHint : 0
; COMPUTE_PGM_RSRC2:SCRATCH_EN: 0
; COMPUTE_PGM_RSRC2:USER_SGPR: 2
; COMPUTE_PGM_RSRC2:TRAP_HANDLER: 0
; COMPUTE_PGM_RSRC2:TGID_X_EN: 1
; COMPUTE_PGM_RSRC2:TGID_Y_EN: 0
; COMPUTE_PGM_RSRC2:TGID_Z_EN: 0
; COMPUTE_PGM_RSRC2:TIDIG_COMP_CNT: 0
	.section	.text._Z11fill_kernelIiZ21hipblaslt_init_deviceIiEv8ABC_dims24hipblaslt_initializationbPT_mmmmmEUlmE7_EvS4_mmT0_,"axG",@progbits,_Z11fill_kernelIiZ21hipblaslt_init_deviceIiEv8ABC_dims24hipblaslt_initializationbPT_mmmmmEUlmE7_EvS4_mmT0_,comdat
	.protected	_Z11fill_kernelIiZ21hipblaslt_init_deviceIiEv8ABC_dims24hipblaslt_initializationbPT_mmmmmEUlmE7_EvS4_mmT0_ ; -- Begin function _Z11fill_kernelIiZ21hipblaslt_init_deviceIiEv8ABC_dims24hipblaslt_initializationbPT_mmmmmEUlmE7_EvS4_mmT0_
	.globl	_Z11fill_kernelIiZ21hipblaslt_init_deviceIiEv8ABC_dims24hipblaslt_initializationbPT_mmmmmEUlmE7_EvS4_mmT0_
	.p2align	8
	.type	_Z11fill_kernelIiZ21hipblaslt_init_deviceIiEv8ABC_dims24hipblaslt_initializationbPT_mmmmmEUlmE7_EvS4_mmT0_,@function
_Z11fill_kernelIiZ21hipblaslt_init_deviceIiEv8ABC_dims24hipblaslt_initializationbPT_mmmmmEUlmE7_EvS4_mmT0_: ; @_Z11fill_kernelIiZ21hipblaslt_init_deviceIiEv8ABC_dims24hipblaslt_initializationbPT_mmmmmEUlmE7_EvS4_mmT0_
; %bb.0:
	s_clause 0x1
	s_load_b32 s2, s[0:1], 0x2c
	s_load_b128 s[4:7], s[0:1], 0x0
	s_bfe_u32 s3, ttmp6, 0x4000c
	s_and_b32 s8, ttmp6, 15
	s_add_co_i32 s3, s3, 1
	s_getreg_b32 s9, hwreg(HW_REG_IB_STS2, 6, 4)
	s_mul_i32 s3, ttmp9, s3
	v_mov_b32_e32 v1, 0
	s_add_co_i32 s8, s8, s3
	s_wait_kmcnt 0x0
	s_and_b32 s2, s2, 0xffff
	s_cmp_eq_u32 s9, 0
	s_cselect_b32 s3, ttmp9, s8
	s_delay_alu instid0(SALU_CYCLE_1) | instskip(SKIP_1) | instid1(VALU_DEP_1)
	v_mad_u32 v0, s3, s2, v0
	s_mov_b32 s2, exec_lo
	v_cmpx_gt_u64_e64 s[6:7], v[0:1]
	s_cbranch_execz .LBB96_2
; %bb.1:
	s_load_b64 s[0:1], s[0:1], 0x10
	s_wait_kmcnt 0x0
	v_add_nc_u64_e32 v[0:1], s[0:1], v[0:1]
	s_mov_b32 s0, 0x19660d
	s_delay_alu instid0(VALU_DEP_1) | instid1(SALU_CYCLE_1)
	v_mad_nc_u64_u32 v[2:3], v0, s0, 0x3c6ef35f
	s_delay_alu instid0(VALU_DEP_1) | instskip(SKIP_1) | instid1(VALU_DEP_2)
	v_mad_u32 v3, 0x19660d, v1, v3
	v_lshl_add_u64 v[0:1], v[0:1], 2, s[4:5]
	v_lshlrev_b64_e32 v[4:5], 13, v[2:3]
	s_delay_alu instid0(VALU_DEP_1) | instskip(NEXT) | instid1(VALU_DEP_2)
	v_xor_b32_e32 v3, v5, v3
	v_xor_b32_e32 v2, v4, v2
	s_delay_alu instid0(VALU_DEP_1) | instskip(NEXT) | instid1(VALU_DEP_1)
	v_lshrrev_b64 v[4:5], 17, v[2:3]
	v_xor_b32_e32 v3, v5, v3
	s_delay_alu instid0(VALU_DEP_2) | instskip(NEXT) | instid1(VALU_DEP_1)
	v_xor_b32_e32 v2, v4, v2
	v_lshlrev_b64_e32 v[4:5], 5, v[2:3]
	s_delay_alu instid0(VALU_DEP_1) | instskip(NEXT) | instid1(VALU_DEP_2)
	v_xor_b32_e32 v3, v5, v3
	v_xor_b32_e32 v2, v4, v2
	s_delay_alu instid0(VALU_DEP_1) | instskip(NEXT) | instid1(VALU_DEP_1)
	v_lshlrev_b64_e32 v[4:5], 13, v[2:3]
	v_xor_b32_e32 v3, v5, v3
	s_delay_alu instid0(VALU_DEP_2) | instskip(NEXT) | instid1(VALU_DEP_1)
	v_xor_b32_e32 v2, v4, v2
	v_lshrrev_b64 v[4:5], 17, v[2:3]
	s_delay_alu instid0(VALU_DEP_1) | instskip(NEXT) | instid1(VALU_DEP_2)
	v_xor_b32_e32 v3, v5, v3
	v_xor_b32_e32 v2, v4, v2
	s_delay_alu instid0(VALU_DEP_1) | instskip(NEXT) | instid1(VALU_DEP_1)
	v_lshlrev_b64_e32 v[4:5], 5, v[2:3]
	v_xor_b32_e32 v3, v5, v3
	s_delay_alu instid0(VALU_DEP_2) | instskip(NEXT) | instid1(VALU_DEP_1)
	v_xor_b32_e32 v2, v4, v2
	v_lshlrev_b64_e32 v[4:5], 13, v[2:3]
	s_delay_alu instid0(VALU_DEP_1) | instskip(NEXT) | instid1(VALU_DEP_2)
	v_xor_b32_e32 v3, v5, v3
	v_xor_b32_e32 v2, v4, v2
	s_delay_alu instid0(VALU_DEP_1) | instskip(NEXT) | instid1(VALU_DEP_1)
	v_alignbit_b32 v3, v3, v2, 17
	v_xor_b32_e32 v2, v3, v2
	s_delay_alu instid0(VALU_DEP_1) | instskip(NEXT) | instid1(VALU_DEP_1)
	v_lshlrev_b32_e32 v3, 5, v2
	v_xor_b32_e32 v2, v3, v2
	s_delay_alu instid0(VALU_DEP_1) | instskip(NEXT) | instid1(VALU_DEP_1)
	v_mul_hi_u32 v3, 0xcccccccd, v2
	v_lshrrev_b32_e32 v3, 3, v3
	s_delay_alu instid0(VALU_DEP_1) | instskip(NEXT) | instid1(VALU_DEP_1)
	v_mul_lo_u32 v3, v3, 10
	v_sub_nc_u32_e32 v2, v2, v3
	s_delay_alu instid0(VALU_DEP_1)
	v_add_nc_u32_e32 v2, 1, v2
	global_store_b32 v[0:1], v2, off
.LBB96_2:
	s_endpgm
	.section	.rodata,"a",@progbits
	.p2align	6, 0x0
	.amdhsa_kernel _Z11fill_kernelIiZ21hipblaslt_init_deviceIiEv8ABC_dims24hipblaslt_initializationbPT_mmmmmEUlmE7_EvS4_mmT0_
		.amdhsa_group_segment_fixed_size 0
		.amdhsa_private_segment_fixed_size 0
		.amdhsa_kernarg_size 288
		.amdhsa_user_sgpr_count 2
		.amdhsa_user_sgpr_dispatch_ptr 0
		.amdhsa_user_sgpr_queue_ptr 0
		.amdhsa_user_sgpr_kernarg_segment_ptr 1
		.amdhsa_user_sgpr_dispatch_id 0
		.amdhsa_user_sgpr_kernarg_preload_length 0
		.amdhsa_user_sgpr_kernarg_preload_offset 0
		.amdhsa_user_sgpr_private_segment_size 0
		.amdhsa_wavefront_size32 1
		.amdhsa_uses_dynamic_stack 0
		.amdhsa_enable_private_segment 0
		.amdhsa_system_sgpr_workgroup_id_x 1
		.amdhsa_system_sgpr_workgroup_id_y 0
		.amdhsa_system_sgpr_workgroup_id_z 0
		.amdhsa_system_sgpr_workgroup_info 0
		.amdhsa_system_vgpr_workitem_id 0
		.amdhsa_next_free_vgpr 6
		.amdhsa_next_free_sgpr 10
		.amdhsa_named_barrier_count 0
		.amdhsa_reserve_vcc 0
		.amdhsa_float_round_mode_32 0
		.amdhsa_float_round_mode_16_64 0
		.amdhsa_float_denorm_mode_32 3
		.amdhsa_float_denorm_mode_16_64 3
		.amdhsa_fp16_overflow 0
		.amdhsa_memory_ordered 1
		.amdhsa_forward_progress 1
		.amdhsa_inst_pref_size 3
		.amdhsa_round_robin_scheduling 0
		.amdhsa_exception_fp_ieee_invalid_op 0
		.amdhsa_exception_fp_denorm_src 0
		.amdhsa_exception_fp_ieee_div_zero 0
		.amdhsa_exception_fp_ieee_overflow 0
		.amdhsa_exception_fp_ieee_underflow 0
		.amdhsa_exception_fp_ieee_inexact 0
		.amdhsa_exception_int_div_zero 0
	.end_amdhsa_kernel
	.section	.text._Z11fill_kernelIiZ21hipblaslt_init_deviceIiEv8ABC_dims24hipblaslt_initializationbPT_mmmmmEUlmE7_EvS4_mmT0_,"axG",@progbits,_Z11fill_kernelIiZ21hipblaslt_init_deviceIiEv8ABC_dims24hipblaslt_initializationbPT_mmmmmEUlmE7_EvS4_mmT0_,comdat
.Lfunc_end96:
	.size	_Z11fill_kernelIiZ21hipblaslt_init_deviceIiEv8ABC_dims24hipblaslt_initializationbPT_mmmmmEUlmE7_EvS4_mmT0_, .Lfunc_end96-_Z11fill_kernelIiZ21hipblaslt_init_deviceIiEv8ABC_dims24hipblaslt_initializationbPT_mmmmmEUlmE7_EvS4_mmT0_
                                        ; -- End function
	.set _Z11fill_kernelIiZ21hipblaslt_init_deviceIiEv8ABC_dims24hipblaslt_initializationbPT_mmmmmEUlmE7_EvS4_mmT0_.num_vgpr, 6
	.set _Z11fill_kernelIiZ21hipblaslt_init_deviceIiEv8ABC_dims24hipblaslt_initializationbPT_mmmmmEUlmE7_EvS4_mmT0_.num_agpr, 0
	.set _Z11fill_kernelIiZ21hipblaslt_init_deviceIiEv8ABC_dims24hipblaslt_initializationbPT_mmmmmEUlmE7_EvS4_mmT0_.numbered_sgpr, 10
	.set _Z11fill_kernelIiZ21hipblaslt_init_deviceIiEv8ABC_dims24hipblaslt_initializationbPT_mmmmmEUlmE7_EvS4_mmT0_.num_named_barrier, 0
	.set _Z11fill_kernelIiZ21hipblaslt_init_deviceIiEv8ABC_dims24hipblaslt_initializationbPT_mmmmmEUlmE7_EvS4_mmT0_.private_seg_size, 0
	.set _Z11fill_kernelIiZ21hipblaslt_init_deviceIiEv8ABC_dims24hipblaslt_initializationbPT_mmmmmEUlmE7_EvS4_mmT0_.uses_vcc, 0
	.set _Z11fill_kernelIiZ21hipblaslt_init_deviceIiEv8ABC_dims24hipblaslt_initializationbPT_mmmmmEUlmE7_EvS4_mmT0_.uses_flat_scratch, 0
	.set _Z11fill_kernelIiZ21hipblaslt_init_deviceIiEv8ABC_dims24hipblaslt_initializationbPT_mmmmmEUlmE7_EvS4_mmT0_.has_dyn_sized_stack, 0
	.set _Z11fill_kernelIiZ21hipblaslt_init_deviceIiEv8ABC_dims24hipblaslt_initializationbPT_mmmmmEUlmE7_EvS4_mmT0_.has_recursion, 0
	.set _Z11fill_kernelIiZ21hipblaslt_init_deviceIiEv8ABC_dims24hipblaslt_initializationbPT_mmmmmEUlmE7_EvS4_mmT0_.has_indirect_call, 0
	.section	.AMDGPU.csdata,"",@progbits
; Kernel info:
; codeLenInByte = 384
; TotalNumSgprs: 10
; NumVgprs: 6
; ScratchSize: 0
; MemoryBound: 0
; FloatMode: 240
; IeeeMode: 1
; LDSByteSize: 0 bytes/workgroup (compile time only)
; SGPRBlocks: 0
; VGPRBlocks: 0
; NumSGPRsForWavesPerEU: 10
; NumVGPRsForWavesPerEU: 6
; NamedBarCnt: 0
; Occupancy: 16
; WaveLimiterHint : 0
; COMPUTE_PGM_RSRC2:SCRATCH_EN: 0
; COMPUTE_PGM_RSRC2:USER_SGPR: 2
; COMPUTE_PGM_RSRC2:TRAP_HANDLER: 0
; COMPUTE_PGM_RSRC2:TGID_X_EN: 1
; COMPUTE_PGM_RSRC2:TGID_Y_EN: 0
; COMPUTE_PGM_RSRC2:TGID_Z_EN: 0
; COMPUTE_PGM_RSRC2:TIDIG_COMP_CNT: 0
	.section	.text._Z11fill_kernelIiZ21hipblaslt_init_deviceIiEv8ABC_dims24hipblaslt_initializationbPT_mmmmmEUlmE8_EvS4_mmT0_,"axG",@progbits,_Z11fill_kernelIiZ21hipblaslt_init_deviceIiEv8ABC_dims24hipblaslt_initializationbPT_mmmmmEUlmE8_EvS4_mmT0_,comdat
	.protected	_Z11fill_kernelIiZ21hipblaslt_init_deviceIiEv8ABC_dims24hipblaslt_initializationbPT_mmmmmEUlmE8_EvS4_mmT0_ ; -- Begin function _Z11fill_kernelIiZ21hipblaslt_init_deviceIiEv8ABC_dims24hipblaslt_initializationbPT_mmmmmEUlmE8_EvS4_mmT0_
	.globl	_Z11fill_kernelIiZ21hipblaslt_init_deviceIiEv8ABC_dims24hipblaslt_initializationbPT_mmmmmEUlmE8_EvS4_mmT0_
	.p2align	8
	.type	_Z11fill_kernelIiZ21hipblaslt_init_deviceIiEv8ABC_dims24hipblaslt_initializationbPT_mmmmmEUlmE8_EvS4_mmT0_,@function
_Z11fill_kernelIiZ21hipblaslt_init_deviceIiEv8ABC_dims24hipblaslt_initializationbPT_mmmmmEUlmE8_EvS4_mmT0_: ; @_Z11fill_kernelIiZ21hipblaslt_init_deviceIiEv8ABC_dims24hipblaslt_initializationbPT_mmmmmEUlmE8_EvS4_mmT0_
; %bb.0:
	s_clause 0x1
	s_load_b32 s2, s[0:1], 0x2c
	s_load_b128 s[4:7], s[0:1], 0x0
	s_bfe_u32 s3, ttmp6, 0x4000c
	s_and_b32 s8, ttmp6, 15
	s_add_co_i32 s3, s3, 1
	s_getreg_b32 s9, hwreg(HW_REG_IB_STS2, 6, 4)
	s_mul_i32 s3, ttmp9, s3
	v_mov_b32_e32 v1, 0
	s_add_co_i32 s8, s8, s3
	s_wait_kmcnt 0x0
	s_and_b32 s2, s2, 0xffff
	s_cmp_eq_u32 s9, 0
	s_cselect_b32 s3, ttmp9, s8
	s_delay_alu instid0(SALU_CYCLE_1) | instskip(SKIP_1) | instid1(VALU_DEP_1)
	v_mad_u32 v0, s3, s2, v0
	s_mov_b32 s2, exec_lo
	v_cmpx_gt_u64_e64 s[6:7], v[0:1]
	s_cbranch_execz .LBB97_2
; %bb.1:
	s_load_b64 s[0:1], s[0:1], 0x10
	s_wait_kmcnt 0x0
	s_lshl_b64 s[0:1], s[0:1], 2
	s_delay_alu instid0(SALU_CYCLE_1) | instskip(NEXT) | instid1(SALU_CYCLE_1)
	s_add_nc_u64 s[0:1], s[4:5], s[0:1]
	v_lshl_add_u64 v[2:3], v[0:1], 2, s[0:1]
	global_store_b32 v[2:3], v1, off
.LBB97_2:
	s_endpgm
	.section	.rodata,"a",@progbits
	.p2align	6, 0x0
	.amdhsa_kernel _Z11fill_kernelIiZ21hipblaslt_init_deviceIiEv8ABC_dims24hipblaslt_initializationbPT_mmmmmEUlmE8_EvS4_mmT0_
		.amdhsa_group_segment_fixed_size 0
		.amdhsa_private_segment_fixed_size 0
		.amdhsa_kernarg_size 288
		.amdhsa_user_sgpr_count 2
		.amdhsa_user_sgpr_dispatch_ptr 0
		.amdhsa_user_sgpr_queue_ptr 0
		.amdhsa_user_sgpr_kernarg_segment_ptr 1
		.amdhsa_user_sgpr_dispatch_id 0
		.amdhsa_user_sgpr_kernarg_preload_length 0
		.amdhsa_user_sgpr_kernarg_preload_offset 0
		.amdhsa_user_sgpr_private_segment_size 0
		.amdhsa_wavefront_size32 1
		.amdhsa_uses_dynamic_stack 0
		.amdhsa_enable_private_segment 0
		.amdhsa_system_sgpr_workgroup_id_x 1
		.amdhsa_system_sgpr_workgroup_id_y 0
		.amdhsa_system_sgpr_workgroup_id_z 0
		.amdhsa_system_sgpr_workgroup_info 0
		.amdhsa_system_vgpr_workitem_id 0
		.amdhsa_next_free_vgpr 4
		.amdhsa_next_free_sgpr 10
		.amdhsa_named_barrier_count 0
		.amdhsa_reserve_vcc 0
		.amdhsa_float_round_mode_32 0
		.amdhsa_float_round_mode_16_64 0
		.amdhsa_float_denorm_mode_32 3
		.amdhsa_float_denorm_mode_16_64 3
		.amdhsa_fp16_overflow 0
		.amdhsa_memory_ordered 1
		.amdhsa_forward_progress 1
		.amdhsa_inst_pref_size 2
		.amdhsa_round_robin_scheduling 0
		.amdhsa_exception_fp_ieee_invalid_op 0
		.amdhsa_exception_fp_denorm_src 0
		.amdhsa_exception_fp_ieee_div_zero 0
		.amdhsa_exception_fp_ieee_overflow 0
		.amdhsa_exception_fp_ieee_underflow 0
		.amdhsa_exception_fp_ieee_inexact 0
		.amdhsa_exception_int_div_zero 0
	.end_amdhsa_kernel
	.section	.text._Z11fill_kernelIiZ21hipblaslt_init_deviceIiEv8ABC_dims24hipblaslt_initializationbPT_mmmmmEUlmE8_EvS4_mmT0_,"axG",@progbits,_Z11fill_kernelIiZ21hipblaslt_init_deviceIiEv8ABC_dims24hipblaslt_initializationbPT_mmmmmEUlmE8_EvS4_mmT0_,comdat
.Lfunc_end97:
	.size	_Z11fill_kernelIiZ21hipblaslt_init_deviceIiEv8ABC_dims24hipblaslt_initializationbPT_mmmmmEUlmE8_EvS4_mmT0_, .Lfunc_end97-_Z11fill_kernelIiZ21hipblaslt_init_deviceIiEv8ABC_dims24hipblaslt_initializationbPT_mmmmmEUlmE8_EvS4_mmT0_
                                        ; -- End function
	.set _Z11fill_kernelIiZ21hipblaslt_init_deviceIiEv8ABC_dims24hipblaslt_initializationbPT_mmmmmEUlmE8_EvS4_mmT0_.num_vgpr, 4
	.set _Z11fill_kernelIiZ21hipblaslt_init_deviceIiEv8ABC_dims24hipblaslt_initializationbPT_mmmmmEUlmE8_EvS4_mmT0_.num_agpr, 0
	.set _Z11fill_kernelIiZ21hipblaslt_init_deviceIiEv8ABC_dims24hipblaslt_initializationbPT_mmmmmEUlmE8_EvS4_mmT0_.numbered_sgpr, 10
	.set _Z11fill_kernelIiZ21hipblaslt_init_deviceIiEv8ABC_dims24hipblaslt_initializationbPT_mmmmmEUlmE8_EvS4_mmT0_.num_named_barrier, 0
	.set _Z11fill_kernelIiZ21hipblaslt_init_deviceIiEv8ABC_dims24hipblaslt_initializationbPT_mmmmmEUlmE8_EvS4_mmT0_.private_seg_size, 0
	.set _Z11fill_kernelIiZ21hipblaslt_init_deviceIiEv8ABC_dims24hipblaslt_initializationbPT_mmmmmEUlmE8_EvS4_mmT0_.uses_vcc, 0
	.set _Z11fill_kernelIiZ21hipblaslt_init_deviceIiEv8ABC_dims24hipblaslt_initializationbPT_mmmmmEUlmE8_EvS4_mmT0_.uses_flat_scratch, 0
	.set _Z11fill_kernelIiZ21hipblaslt_init_deviceIiEv8ABC_dims24hipblaslt_initializationbPT_mmmmmEUlmE8_EvS4_mmT0_.has_dyn_sized_stack, 0
	.set _Z11fill_kernelIiZ21hipblaslt_init_deviceIiEv8ABC_dims24hipblaslt_initializationbPT_mmmmmEUlmE8_EvS4_mmT0_.has_recursion, 0
	.set _Z11fill_kernelIiZ21hipblaslt_init_deviceIiEv8ABC_dims24hipblaslt_initializationbPT_mmmmmEUlmE8_EvS4_mmT0_.has_indirect_call, 0
	.section	.AMDGPU.csdata,"",@progbits
; Kernel info:
; codeLenInByte = 148
; TotalNumSgprs: 10
; NumVgprs: 4
; ScratchSize: 0
; MemoryBound: 0
; FloatMode: 240
; IeeeMode: 1
; LDSByteSize: 0 bytes/workgroup (compile time only)
; SGPRBlocks: 0
; VGPRBlocks: 0
; NumSGPRsForWavesPerEU: 10
; NumVGPRsForWavesPerEU: 4
; NamedBarCnt: 0
; Occupancy: 16
; WaveLimiterHint : 0
; COMPUTE_PGM_RSRC2:SCRATCH_EN: 0
; COMPUTE_PGM_RSRC2:USER_SGPR: 2
; COMPUTE_PGM_RSRC2:TRAP_HANDLER: 0
; COMPUTE_PGM_RSRC2:TGID_X_EN: 1
; COMPUTE_PGM_RSRC2:TGID_Y_EN: 0
; COMPUTE_PGM_RSRC2:TGID_Z_EN: 0
; COMPUTE_PGM_RSRC2:TIDIG_COMP_CNT: 0
	.section	.text._Z11fill_kernelIiZ21hipblaslt_init_deviceIiEv8ABC_dims24hipblaslt_initializationbPT_mmmmmEUlmE9_EvS4_mmT0_,"axG",@progbits,_Z11fill_kernelIiZ21hipblaslt_init_deviceIiEv8ABC_dims24hipblaslt_initializationbPT_mmmmmEUlmE9_EvS4_mmT0_,comdat
	.protected	_Z11fill_kernelIiZ21hipblaslt_init_deviceIiEv8ABC_dims24hipblaslt_initializationbPT_mmmmmEUlmE9_EvS4_mmT0_ ; -- Begin function _Z11fill_kernelIiZ21hipblaslt_init_deviceIiEv8ABC_dims24hipblaslt_initializationbPT_mmmmmEUlmE9_EvS4_mmT0_
	.globl	_Z11fill_kernelIiZ21hipblaslt_init_deviceIiEv8ABC_dims24hipblaslt_initializationbPT_mmmmmEUlmE9_EvS4_mmT0_
	.p2align	8
	.type	_Z11fill_kernelIiZ21hipblaslt_init_deviceIiEv8ABC_dims24hipblaslt_initializationbPT_mmmmmEUlmE9_EvS4_mmT0_,@function
_Z11fill_kernelIiZ21hipblaslt_init_deviceIiEv8ABC_dims24hipblaslt_initializationbPT_mmmmmEUlmE9_EvS4_mmT0_: ; @_Z11fill_kernelIiZ21hipblaslt_init_deviceIiEv8ABC_dims24hipblaslt_initializationbPT_mmmmmEUlmE9_EvS4_mmT0_
; %bb.0:
	s_clause 0x1
	s_load_b32 s2, s[0:1], 0x2c
	s_load_b128 s[4:7], s[0:1], 0x0
	s_bfe_u32 s3, ttmp6, 0x4000c
	s_and_b32 s8, ttmp6, 15
	s_add_co_i32 s3, s3, 1
	s_getreg_b32 s9, hwreg(HW_REG_IB_STS2, 6, 4)
	s_mul_i32 s3, ttmp9, s3
	v_mov_b32_e32 v1, 0
	s_add_co_i32 s8, s8, s3
	s_wait_kmcnt 0x0
	s_and_b32 s2, s2, 0xffff
	s_cmp_eq_u32 s9, 0
	s_cselect_b32 s3, ttmp9, s8
	s_delay_alu instid0(SALU_CYCLE_1) | instskip(SKIP_1) | instid1(VALU_DEP_1)
	v_mad_u32 v0, s3, s2, v0
	s_mov_b32 s2, exec_lo
	v_cmpx_gt_u64_e64 s[6:7], v[0:1]
	s_cbranch_execz .LBB98_6
; %bb.1:
	s_load_b96 s[0:2], s[0:1], 0x10
	s_wait_kmcnt 0x0
	v_add_nc_u64_e32 v[0:1], s[0:1], v[0:1]
	s_mov_b32 s0, 0xb90ffb1d
	s_delay_alu instid0(VALU_DEP_1) | instskip(NEXT) | instid1(VALU_DEP_1)
	v_add_nc_u32_e32 v2, s2, v0
	v_mad_u32 v3, v2, s0, 0xdc6d3ef
	s_mov_b32 s0, 0x6ab9d291
	s_delay_alu instid0(VALU_DEP_1) | instskip(SKIP_3) | instid1(VALU_DEP_2)
	v_lshrrev_b32_e32 v5, 2, v3
	v_mad_u32 v4, 0x10dcd, v2, 1
	v_mad_u32 v6, v2, s0, 0xdfb3c992
	s_mov_b32 s0, exec_lo
	v_dual_lshlrev_b32 v7, 4, v4 :: v_dual_bitop2_b32 v3, v5, v3 bitop3:0x14
	s_delay_alu instid0(VALU_DEP_1) | instskip(NEXT) | instid1(VALU_DEP_1)
	v_dual_lshlrev_b32 v5, 1, v3 :: v_dual_lshrrev_b32 v8, 2, v6
	v_xor_b32_e32 v6, v8, v6
	s_delay_alu instid0(VALU_DEP_2) | instskip(NEXT) | instid1(VALU_DEP_1)
	v_xor_b32_e32 v5, v7, v5
	v_xor3_b32 v3, v5, v4, v3
	s_delay_alu instid0(VALU_DEP_1) | instskip(NEXT) | instid1(VALU_DEP_1)
	v_dual_lshlrev_b32 v5, 4, v3 :: v_dual_lshlrev_b32 v4, 1, v6
	v_xor_b32_e32 v5, v4, v5
	v_xor_b32_e32 v4, 0x587c5, v2
	s_delay_alu instid0(VALU_DEP_2) | instskip(NEXT) | instid1(VALU_DEP_1)
	v_xor3_b32 v2, v5, v6, v3
                                        ; implicit-def: $vgpr6
                                        ; implicit-def: $vgpr5
	v_add3_u32 v2, v4, v2, 0xb0f8a
	s_delay_alu instid0(VALU_DEP_1) | instskip(NEXT) | instid1(VALU_DEP_1)
	v_cvt_f32_u32_e32 v2, v2
	v_mul_f32_e32 v2, 0x2f800000, v2
	s_delay_alu instid0(VALU_DEP_1) | instskip(NEXT) | instid1(VALU_DEP_1)
	v_mul_f32_e32 v2, 0x40c90fdb, v2
	v_cmpx_ngt_f32_e32 0x48000000, v2
	s_xor_b32 s2, exec_lo, s0
	s_cbranch_execz .LBB98_3
; %bb.2:
	s_mov_b32 s0, 0x7fffff
	v_mov_b32_e32 v7, 0
	v_and_or_b32 v6, v2, s0, 0x800000
	s_mov_b64 s[0:1], 0xfe5163ab
	v_lshrrev_b32_e32 v5, 23, v2
	s_delay_alu instid0(VALU_DEP_2) | instskip(NEXT) | instid1(VALU_DEP_1)
	v_mul_u64_e32 v[8:9], s[0:1], v[6:7]
	v_dual_mov_b32 v10, v9 :: v_dual_mov_b32 v11, v7
	v_dual_mov_b32 v13, v7 :: v_dual_mov_b32 v15, v7
	;; [unrolled: 1-line block ×3, first 2 shown]
	s_delay_alu instid0(VALU_DEP_3) | instskip(NEXT) | instid1(VALU_DEP_1)
	v_mad_nc_u64_u32 v[10:11], 0x3c439041, v6, v[10:11]
	v_mov_b32_e32 v12, v11
	s_delay_alu instid0(VALU_DEP_1) | instskip(NEXT) | instid1(VALU_DEP_1)
	v_mad_nc_u64_u32 v[12:13], 0xdb629599, v6, v[12:13]
	v_mov_b32_e32 v14, v13
	s_delay_alu instid0(VALU_DEP_1) | instskip(NEXT) | instid1(VALU_DEP_1)
	;; [unrolled: 3-line block ×3, first 2 shown]
	v_mad_nc_u64_u32 v[16:17], 0xfc2757d1, v6, v[16:17]
	v_dual_mov_b32 v19, v7 :: v_dual_mov_b32 v18, v17
	s_delay_alu instid0(VALU_DEP_1) | instskip(NEXT) | instid1(VALU_DEP_1)
	v_mad_nc_u64_u32 v[18:19], 0x4e441529, v6, v[18:19]
	v_dual_mov_b32 v20, v19 :: v_dual_add_nc_u32 v5, 0xffffff88, v5
	s_delay_alu instid0(VALU_DEP_1) | instskip(NEXT) | instid1(VALU_DEP_2)
	v_cmp_lt_u32_e32 vcc_lo, 63, v5
	v_mad_nc_u64_u32 v[6:7], 0xa2f9836e, v6, v[20:21]
	v_cndmask_b32_e64 v9, 0, 0xffffffc0, vcc_lo
	v_dual_cndmask_b32 v11, v18, v14 :: v_dual_cndmask_b32 v8, v12, v8
	s_delay_alu instid0(VALU_DEP_2) | instskip(NEXT) | instid1(VALU_DEP_1)
	v_add_nc_u32_e32 v5, v9, v5
	v_cmp_lt_u32_e64 s0, 31, v5
	v_dual_cndmask_b32 v6, v6, v16 :: v_dual_cndmask_b32 v7, v7, v18
	s_delay_alu instid0(VALU_DEP_2) | instskip(NEXT) | instid1(VALU_DEP_1)
	v_cndmask_b32_e64 v9, 0, 0xffffffe0, s0
	v_add_nc_u32_e32 v5, v9, v5
	s_delay_alu instid0(VALU_DEP_1) | instskip(NEXT) | instid1(VALU_DEP_1)
	v_cmp_lt_u32_e64 s1, 31, v5
	v_cndmask_b32_e64 v9, 0, 0xffffffe0, s1
	s_delay_alu instid0(VALU_DEP_1) | instskip(SKIP_2) | instid1(VALU_DEP_3)
	v_dual_cndmask_b32 v13, v16, v12, vcc_lo :: v_dual_add_nc_u32 v5, v9, v5
	v_cndmask_b32_e32 v9, v14, v10, vcc_lo
	v_dual_cndmask_b32 v10, v6, v11, s0 :: v_dual_cndmask_b32 v6, v7, v6, s0
	v_cndmask_b32_e64 v7, v11, v13, s0
	s_delay_alu instid0(VALU_DEP_4) | instskip(NEXT) | instid1(VALU_DEP_4)
	v_sub_nc_u32_e32 v11, 32, v5
	v_cndmask_b32_e64 v13, v13, v9, s0
	v_cmp_eq_u32_e32 vcc_lo, 0, v5
	v_cndmask_b32_e64 v6, v6, v10, s1
	s_delay_alu instid0(VALU_DEP_3) | instskip(NEXT) | instid1(VALU_DEP_1)
	v_dual_cndmask_b32 v10, v10, v7, s1 :: v_dual_cndmask_b32 v7, v7, v13, s1
	v_alignbit_b32 v14, v6, v10, v11
	s_delay_alu instid0(VALU_DEP_2) | instskip(NEXT) | instid1(VALU_DEP_2)
	v_alignbit_b32 v12, v10, v7, v11
	v_dual_cndmask_b32 v5, v14, v6, vcc_lo :: v_dual_cndmask_b32 v6, v9, v8, s0
	s_delay_alu instid0(VALU_DEP_1) | instskip(NEXT) | instid1(VALU_DEP_1)
	v_bfe_u32 v9, v5, 29, 1
	v_dual_cndmask_b32 v8, v12, v10, vcc_lo :: v_dual_sub_nc_u32 v12, 0, v9
	s_delay_alu instid0(VALU_DEP_1) | instskip(NEXT) | instid1(VALU_DEP_1)
	v_alignbit_b32 v10, v5, v8, 30
	v_dual_cndmask_b32 v6, v13, v6, s1 :: v_dual_bitop2_b32 v10, v10, v12 bitop3:0x14
	s_delay_alu instid0(VALU_DEP_1) | instskip(NEXT) | instid1(VALU_DEP_1)
	v_alignbit_b32 v11, v7, v6, v11
	v_cndmask_b32_e32 v7, v11, v7, vcc_lo
	s_delay_alu instid0(VALU_DEP_3) | instskip(NEXT) | instid1(VALU_DEP_2)
	v_clz_i32_u32_e32 v11, v10
	v_alignbit_b32 v6, v7, v6, 30
	s_delay_alu instid0(VALU_DEP_2) | instskip(NEXT) | instid1(VALU_DEP_2)
	v_min_u32_e32 v11, 32, v11
	v_xor_b32_e32 v6, v6, v12
	v_alignbit_b32 v8, v8, v7, 30
	s_delay_alu instid0(VALU_DEP_1) | instskip(SKIP_1) | instid1(VALU_DEP_1)
	v_dual_lshlrev_b32 v13, 23, v11 :: v_dual_bitop2_b32 v7, v8, v12 bitop3:0x14
	v_dual_sub_nc_u32 v8, 31, v11 :: v_dual_lshrrev_b32 v12, 29, v5
	v_alignbit_b32 v10, v10, v7, v8
	v_alignbit_b32 v6, v7, v6, v8
	s_delay_alu instid0(VALU_DEP_3) | instskip(NEXT) | instid1(VALU_DEP_2)
	v_lshlrev_b32_e32 v7, 31, v12
	v_alignbit_b32 v8, v10, v6, 9
	s_delay_alu instid0(VALU_DEP_2) | instskip(NEXT) | instid1(VALU_DEP_2)
	v_dual_lshrrev_b32 v10, 9, v10 :: v_dual_bitop2_b32 v12, 0.5, v7 bitop3:0x54
	v_clz_i32_u32_e32 v14, v8
	s_delay_alu instid0(VALU_DEP_2) | instskip(SKIP_1) | instid1(VALU_DEP_3)
	v_sub_nc_u32_e32 v12, v12, v13
	v_or_b32_e32 v7, 0x33000000, v7
	v_min_u32_e32 v13, 32, v14
	s_delay_alu instid0(VALU_DEP_1) | instskip(NEXT) | instid1(VALU_DEP_4)
	v_add_lshl_u32 v11, v13, v11, 23
	v_or_b32_e32 v10, v10, v12
	v_not_b32_e32 v12, v13
	s_delay_alu instid0(VALU_DEP_2) | instskip(NEXT) | instid1(VALU_DEP_2)
	v_dual_mul_f32 v14, 0x3fc90fda, v10 :: v_dual_sub_nc_u32 v7, v7, v11
	v_alignbit_b32 v6, v8, v6, v12
	s_delay_alu instid0(VALU_DEP_2) | instskip(NEXT) | instid1(VALU_DEP_2)
	v_fma_f32 v8, 0x3fc90fda, v10, -v14
	v_lshrrev_b32_e32 v6, 9, v6
	s_delay_alu instid0(VALU_DEP_2) | instskip(NEXT) | instid1(VALU_DEP_2)
	v_fmamk_f32 v8, v10, 0x33a22168, v8
	v_or_b32_e32 v6, v7, v6
	s_delay_alu instid0(VALU_DEP_1) | instskip(NEXT) | instid1(VALU_DEP_1)
	v_fmac_f32_e32 v8, 0x3fc90fda, v6
	v_dual_add_f32 v5, v14, v8 :: v_dual_lshrrev_b32 v6, 30, v5
	s_delay_alu instid0(VALU_DEP_1)
	v_add_nc_u32_e32 v6, v9, v6
.LBB98_3:
	s_and_not1_saveexec_b32 s0, s2
; %bb.4:
	v_mul_f32_e32 v5, 0x3f22f983, v2
	s_delay_alu instid0(VALU_DEP_1) | instskip(NEXT) | instid1(VALU_DEP_1)
	v_rndne_f32_e32 v6, v5
	v_fmamk_f32 v5, v6, 0xbfc90fda, v2
	s_delay_alu instid0(VALU_DEP_1) | instskip(NEXT) | instid1(VALU_DEP_1)
	v_fmamk_f32 v5, v6, 0xb3a22168, v5
	v_fmamk_f32 v5, v6, 0xa7c234c4, v5
	v_cvt_i32_f32_e32 v6, v6
; %bb.5:
	s_or_b32 exec_lo, exec_lo, s0
	v_add3_u32 v3, v4, v3, 0x587c5
	s_mov_b32 s0, 0xb94c1982
	s_mov_b32 s1, 0x37d75334
	v_lshl_add_u64 v[0:1], v[0:1], 2, s[4:5]
	s_delay_alu instid0(VALU_DEP_2) | instskip(NEXT) | instid1(VALU_DEP_1)
	v_cvt_f32_u32_e32 v3, v3
	v_mul_f32_e32 v3, 0x2f800000, v3
	s_delay_alu instid0(VALU_DEP_1) | instskip(SKIP_1) | instid1(VALU_DEP_1)
	v_cmp_ngt_f32_e32 vcc_lo, 0x2edbe6ff, v3
	v_cndmask_b32_e32 v3, 0x2edbe6ff, v3, vcc_lo
	v_cmp_gt_f32_e32 vcc_lo, 0x800000, v3
	v_cndmask_b32_e64 v4, 0, 32, vcc_lo
	v_cndmask_b32_e64 v7, 0, 0x41b17218, vcc_lo
	s_delay_alu instid0(VALU_DEP_2) | instskip(NEXT) | instid1(VALU_DEP_1)
	v_ldexp_f32 v3, v3, v4
	v_log_f32_e32 v3, v3
	v_nop
	s_delay_alu instid0(TRANS32_DEP_1) | instskip(SKIP_1) | instid1(VALU_DEP_2)
	v_mul_f32_e32 v4, 0x3f317217, v3
	v_cmp_gt_f32_e64 vcc_lo, 0x7f800000, |v3|
	v_fma_f32 v4, 0x3f317217, v3, -v4
	s_delay_alu instid0(VALU_DEP_1) | instskip(NEXT) | instid1(VALU_DEP_1)
	v_fmamk_f32 v4, v3, 0x3377d1cf, v4
	v_fmac_f32_e32 v4, 0x3f317217, v3
	s_delay_alu instid0(VALU_DEP_1) | instskip(NEXT) | instid1(VALU_DEP_1)
	v_cndmask_b32_e32 v3, v3, v4, vcc_lo
	v_sub_f32_e32 v3, v3, v7
	s_delay_alu instid0(VALU_DEP_1) | instskip(NEXT) | instid1(VALU_DEP_1)
	v_mul_f32_e32 v3, -2.0, v3
	v_cmp_gt_f32_e32 vcc_lo, 0xf800000, v3
	v_mul_f32_e32 v4, 0x4f800000, v3
	s_delay_alu instid0(VALU_DEP_1) | instskip(NEXT) | instid1(VALU_DEP_1)
	v_dual_cndmask_b32 v3, v3, v4 :: v_dual_mul_f32 v4, v5, v5
	v_sqrt_f32_e32 v7, v3
	s_delay_alu instid0(VALU_DEP_1) | instskip(NEXT) | instid1(TRANS32_DEP_1)
	v_fmaak_f32 v8, s0, v4, 0x3c0881c4
	v_dual_fmaak_f32 v9, s1, v4, 0xbab64f3b :: v_dual_add_nc_u32 v10, -1, v7
	s_delay_alu instid0(VALU_DEP_2) | instskip(NEXT) | instid1(VALU_DEP_1)
	v_dual_fmaak_f32 v8, v4, v8, 0xbe2aaa9d :: v_dual_add_nc_u32 v11, 1, v7
	v_dual_fma_f32 v12, -v10, v7, v3 :: v_dual_fma_f32 v13, -v11, v7, v3
	s_delay_alu instid0(VALU_DEP_2) | instskip(NEXT) | instid1(VALU_DEP_2)
	v_mul_f32_e32 v8, v4, v8
	v_cmp_ge_f32_e64 s0, 0, v12
	s_delay_alu instid0(VALU_DEP_1) | instskip(NEXT) | instid1(VALU_DEP_4)
	v_dual_fmac_f32 v5, v5, v8 :: v_dual_cndmask_b32 v7, v7, v10, s0
	v_cmp_lt_f32_e64 s0, 0, v13
	v_dual_lshlrev_b32 v6, 30, v6 :: v_dual_bitop2_b32 v10, 1, v6 bitop3:0x40
	v_fmaak_f32 v9, v4, v9, 0x3d2aabf7
	s_delay_alu instid0(VALU_DEP_3) | instskip(NEXT) | instid1(VALU_DEP_3)
	v_cndmask_b32_e64 v7, v7, v11, s0
	v_cmp_eq_u32_e64 s0, 0, v10
	s_delay_alu instid0(VALU_DEP_3) | instskip(NEXT) | instid1(VALU_DEP_1)
	v_fmaak_f32 v9, v4, v9, 0xbf000004
	v_fma_f32 v4, v4, v9, 1.0
	s_delay_alu instid0(VALU_DEP_1) | instskip(SKIP_1) | instid1(VALU_DEP_2)
	v_cndmask_b32_e64 v4, -v5, v4, s0
	v_mul_f32_e32 v5, 0x37800000, v7
	v_bitop3_b32 v4, v6, v4, 0x80000000 bitop3:0x6c
	s_delay_alu instid0(VALU_DEP_2) | instskip(SKIP_1) | instid1(VALU_DEP_3)
	v_cndmask_b32_e32 v5, v7, v5, vcc_lo
	v_cmp_lg_f32_e32 vcc_lo, 0x7f800000, v2
	v_cndmask_b32_e32 v2, 0x7fc00000, v4, vcc_lo
	v_cmp_class_f32_e64 vcc_lo, v3, 0x260
	s_delay_alu instid0(VALU_DEP_4) | instskip(NEXT) | instid1(VALU_DEP_1)
	v_cndmask_b32_e32 v3, v5, v3, vcc_lo
	v_mul_f32_e32 v2, v3, v2
	s_delay_alu instid0(VALU_DEP_1)
	v_cvt_i32_f32_e32 v2, v2
	global_store_b32 v[0:1], v2, off
.LBB98_6:
	s_endpgm
	.section	.rodata,"a",@progbits
	.p2align	6, 0x0
	.amdhsa_kernel _Z11fill_kernelIiZ21hipblaslt_init_deviceIiEv8ABC_dims24hipblaslt_initializationbPT_mmmmmEUlmE9_EvS4_mmT0_
		.amdhsa_group_segment_fixed_size 0
		.amdhsa_private_segment_fixed_size 0
		.amdhsa_kernarg_size 288
		.amdhsa_user_sgpr_count 2
		.amdhsa_user_sgpr_dispatch_ptr 0
		.amdhsa_user_sgpr_queue_ptr 0
		.amdhsa_user_sgpr_kernarg_segment_ptr 1
		.amdhsa_user_sgpr_dispatch_id 0
		.amdhsa_user_sgpr_kernarg_preload_length 0
		.amdhsa_user_sgpr_kernarg_preload_offset 0
		.amdhsa_user_sgpr_private_segment_size 0
		.amdhsa_wavefront_size32 1
		.amdhsa_uses_dynamic_stack 0
		.amdhsa_enable_private_segment 0
		.amdhsa_system_sgpr_workgroup_id_x 1
		.amdhsa_system_sgpr_workgroup_id_y 0
		.amdhsa_system_sgpr_workgroup_id_z 0
		.amdhsa_system_sgpr_workgroup_info 0
		.amdhsa_system_vgpr_workitem_id 0
		.amdhsa_next_free_vgpr 22
		.amdhsa_next_free_sgpr 10
		.amdhsa_named_barrier_count 0
		.amdhsa_reserve_vcc 1
		.amdhsa_float_round_mode_32 0
		.amdhsa_float_round_mode_16_64 0
		.amdhsa_float_denorm_mode_32 3
		.amdhsa_float_denorm_mode_16_64 3
		.amdhsa_fp16_overflow 0
		.amdhsa_memory_ordered 1
		.amdhsa_forward_progress 1
		.amdhsa_inst_pref_size 13
		.amdhsa_round_robin_scheduling 0
		.amdhsa_exception_fp_ieee_invalid_op 0
		.amdhsa_exception_fp_denorm_src 0
		.amdhsa_exception_fp_ieee_div_zero 0
		.amdhsa_exception_fp_ieee_overflow 0
		.amdhsa_exception_fp_ieee_underflow 0
		.amdhsa_exception_fp_ieee_inexact 0
		.amdhsa_exception_int_div_zero 0
	.end_amdhsa_kernel
	.section	.text._Z11fill_kernelIiZ21hipblaslt_init_deviceIiEv8ABC_dims24hipblaslt_initializationbPT_mmmmmEUlmE9_EvS4_mmT0_,"axG",@progbits,_Z11fill_kernelIiZ21hipblaslt_init_deviceIiEv8ABC_dims24hipblaslt_initializationbPT_mmmmmEUlmE9_EvS4_mmT0_,comdat
.Lfunc_end98:
	.size	_Z11fill_kernelIiZ21hipblaslt_init_deviceIiEv8ABC_dims24hipblaslt_initializationbPT_mmmmmEUlmE9_EvS4_mmT0_, .Lfunc_end98-_Z11fill_kernelIiZ21hipblaslt_init_deviceIiEv8ABC_dims24hipblaslt_initializationbPT_mmmmmEUlmE9_EvS4_mmT0_
                                        ; -- End function
	.set _Z11fill_kernelIiZ21hipblaslt_init_deviceIiEv8ABC_dims24hipblaslt_initializationbPT_mmmmmEUlmE9_EvS4_mmT0_.num_vgpr, 22
	.set _Z11fill_kernelIiZ21hipblaslt_init_deviceIiEv8ABC_dims24hipblaslt_initializationbPT_mmmmmEUlmE9_EvS4_mmT0_.num_agpr, 0
	.set _Z11fill_kernelIiZ21hipblaslt_init_deviceIiEv8ABC_dims24hipblaslt_initializationbPT_mmmmmEUlmE9_EvS4_mmT0_.numbered_sgpr, 10
	.set _Z11fill_kernelIiZ21hipblaslt_init_deviceIiEv8ABC_dims24hipblaslt_initializationbPT_mmmmmEUlmE9_EvS4_mmT0_.num_named_barrier, 0
	.set _Z11fill_kernelIiZ21hipblaslt_init_deviceIiEv8ABC_dims24hipblaslt_initializationbPT_mmmmmEUlmE9_EvS4_mmT0_.private_seg_size, 0
	.set _Z11fill_kernelIiZ21hipblaslt_init_deviceIiEv8ABC_dims24hipblaslt_initializationbPT_mmmmmEUlmE9_EvS4_mmT0_.uses_vcc, 1
	.set _Z11fill_kernelIiZ21hipblaslt_init_deviceIiEv8ABC_dims24hipblaslt_initializationbPT_mmmmmEUlmE9_EvS4_mmT0_.uses_flat_scratch, 0
	.set _Z11fill_kernelIiZ21hipblaslt_init_deviceIiEv8ABC_dims24hipblaslt_initializationbPT_mmmmmEUlmE9_EvS4_mmT0_.has_dyn_sized_stack, 0
	.set _Z11fill_kernelIiZ21hipblaslt_init_deviceIiEv8ABC_dims24hipblaslt_initializationbPT_mmmmmEUlmE9_EvS4_mmT0_.has_recursion, 0
	.set _Z11fill_kernelIiZ21hipblaslt_init_deviceIiEv8ABC_dims24hipblaslt_initializationbPT_mmmmmEUlmE9_EvS4_mmT0_.has_indirect_call, 0
	.section	.AMDGPU.csdata,"",@progbits
; Kernel info:
; codeLenInByte = 1592
; TotalNumSgprs: 12
; NumVgprs: 22
; ScratchSize: 0
; MemoryBound: 0
; FloatMode: 240
; IeeeMode: 1
; LDSByteSize: 0 bytes/workgroup (compile time only)
; SGPRBlocks: 0
; VGPRBlocks: 1
; NumSGPRsForWavesPerEU: 12
; NumVGPRsForWavesPerEU: 22
; NamedBarCnt: 0
; Occupancy: 16
; WaveLimiterHint : 0
; COMPUTE_PGM_RSRC2:SCRATCH_EN: 0
; COMPUTE_PGM_RSRC2:USER_SGPR: 2
; COMPUTE_PGM_RSRC2:TRAP_HANDLER: 0
; COMPUTE_PGM_RSRC2:TGID_X_EN: 1
; COMPUTE_PGM_RSRC2:TGID_Y_EN: 0
; COMPUTE_PGM_RSRC2:TGID_Z_EN: 0
; COMPUTE_PGM_RSRC2:TIDIG_COMP_CNT: 0
	.section	.text._Z11fill_kernelIaZ21hipblaslt_init_deviceIaEv8ABC_dims24hipblaslt_initializationbPT_mmmmmEUlmE_EvS4_mmT0_,"axG",@progbits,_Z11fill_kernelIaZ21hipblaslt_init_deviceIaEv8ABC_dims24hipblaslt_initializationbPT_mmmmmEUlmE_EvS4_mmT0_,comdat
	.protected	_Z11fill_kernelIaZ21hipblaslt_init_deviceIaEv8ABC_dims24hipblaslt_initializationbPT_mmmmmEUlmE_EvS4_mmT0_ ; -- Begin function _Z11fill_kernelIaZ21hipblaslt_init_deviceIaEv8ABC_dims24hipblaslt_initializationbPT_mmmmmEUlmE_EvS4_mmT0_
	.globl	_Z11fill_kernelIaZ21hipblaslt_init_deviceIaEv8ABC_dims24hipblaslt_initializationbPT_mmmmmEUlmE_EvS4_mmT0_
	.p2align	8
	.type	_Z11fill_kernelIaZ21hipblaslt_init_deviceIaEv8ABC_dims24hipblaslt_initializationbPT_mmmmmEUlmE_EvS4_mmT0_,@function
_Z11fill_kernelIaZ21hipblaslt_init_deviceIaEv8ABC_dims24hipblaslt_initializationbPT_mmmmmEUlmE_EvS4_mmT0_: ; @_Z11fill_kernelIaZ21hipblaslt_init_deviceIaEv8ABC_dims24hipblaslt_initializationbPT_mmmmmEUlmE_EvS4_mmT0_
; %bb.0:
	s_clause 0x1
	s_load_b32 s2, s[0:1], 0x8c
	s_load_b128 s[4:7], s[0:1], 0x0
	s_bfe_u32 s3, ttmp6, 0x4000c
	s_and_b32 s8, ttmp6, 15
	s_add_co_i32 s3, s3, 1
	s_getreg_b32 s9, hwreg(HW_REG_IB_STS2, 6, 4)
	s_mul_i32 s3, ttmp9, s3
	v_mov_b32_e32 v1, 0
	s_add_co_i32 s8, s8, s3
	s_wait_kmcnt 0x0
	s_and_b32 s2, s2, 0xffff
	s_cmp_eq_u32 s9, 0
	s_cselect_b32 s3, ttmp9, s8
	s_delay_alu instid0(SALU_CYCLE_1) | instskip(SKIP_1) | instid1(VALU_DEP_1)
	v_mad_u32 v0, s3, s2, v0
	s_mov_b32 s2, exec_lo
	v_cmpx_gt_u64_e64 s[6:7], v[0:1]
	s_cbranch_execz .LBB99_2
; %bb.1:
	s_load_b64 s[2:3], s[0:1], 0x10
	s_wait_kmcnt 0x0
	v_add_nc_u64_e32 v[0:1], s[2:3], v[0:1]
	s_mov_b32 s2, 0x19660d
	s_delay_alu instid0(VALU_DEP_1) | instid1(SALU_CYCLE_1)
	v_mad_nc_u64_u32 v[2:3], v0, s2, 0x3c6ef35f
	s_delay_alu instid0(VALU_DEP_1) | instskip(SKIP_1) | instid1(VALU_DEP_2)
	v_mad_u32 v3, 0x19660d, v1, v3
	v_add_nc_u64_e32 v[0:1], s[4:5], v[0:1]
	v_lshlrev_b64_e32 v[4:5], 13, v[2:3]
	s_delay_alu instid0(VALU_DEP_1) | instskip(NEXT) | instid1(VALU_DEP_2)
	v_xor_b32_e32 v3, v5, v3
	v_xor_b32_e32 v2, v4, v2
	s_delay_alu instid0(VALU_DEP_1) | instskip(NEXT) | instid1(VALU_DEP_1)
	v_lshrrev_b64 v[4:5], 17, v[2:3]
	v_xor_b32_e32 v3, v5, v3
	s_delay_alu instid0(VALU_DEP_2) | instskip(NEXT) | instid1(VALU_DEP_1)
	v_xor_b32_e32 v2, v4, v2
	v_lshlrev_b64_e32 v[4:5], 5, v[2:3]
	s_delay_alu instid0(VALU_DEP_1) | instskip(NEXT) | instid1(VALU_DEP_2)
	v_xor_b32_e32 v3, v5, v3
	v_xor_b32_e32 v2, v4, v2
	s_delay_alu instid0(VALU_DEP_1) | instskip(NEXT) | instid1(VALU_DEP_1)
	v_lshlrev_b64_e32 v[4:5], 13, v[2:3]
	v_xor_b32_e32 v3, v5, v3
	s_delay_alu instid0(VALU_DEP_2) | instskip(NEXT) | instid1(VALU_DEP_1)
	v_xor_b32_e32 v2, v4, v2
	v_lshrrev_b64 v[4:5], 17, v[2:3]
	s_delay_alu instid0(VALU_DEP_1) | instskip(NEXT) | instid1(VALU_DEP_2)
	v_xor_b32_e32 v3, v5, v3
	v_xor_b32_e32 v2, v4, v2
	s_delay_alu instid0(VALU_DEP_1) | instskip(NEXT) | instid1(VALU_DEP_1)
	v_lshlrev_b64_e32 v[4:5], 5, v[2:3]
	v_xor_b32_e32 v3, v5, v3
	s_delay_alu instid0(VALU_DEP_2) | instskip(NEXT) | instid1(VALU_DEP_1)
	v_xor_b32_e32 v2, v4, v2
	v_lshlrev_b64_e32 v[4:5], 13, v[2:3]
	s_delay_alu instid0(VALU_DEP_1) | instskip(NEXT) | instid1(VALU_DEP_2)
	v_xor_b32_e32 v3, v5, v3
	v_xor_b32_e32 v2, v4, v2
	s_delay_alu instid0(VALU_DEP_1) | instskip(NEXT) | instid1(VALU_DEP_1)
	v_alignbit_b32 v3, v3, v2, 17
	v_xor_b32_e32 v2, v3, v2
	s_delay_alu instid0(VALU_DEP_1) | instskip(NEXT) | instid1(VALU_DEP_1)
	v_lshlrev_b32_e32 v3, 5, v2
	v_xor_b32_e32 v2, v3, v2
	s_delay_alu instid0(VALU_DEP_1) | instskip(NEXT) | instid1(VALU_DEP_1)
	v_mul_hi_u32 v3, 0x51eb851f, v2
	v_lshrrev_b32_e32 v3, 5, v3
	s_delay_alu instid0(VALU_DEP_1) | instskip(NEXT) | instid1(VALU_DEP_1)
	v_mul_lo_u32 v3, 0x64, v3
	v_sub_nc_u32_e32 v2, v2, v3
	global_load_u8 v2, v2, s[0:1] offset:24
	s_wait_loadcnt 0x0
	global_store_b8 v[0:1], v2, off
.LBB99_2:
	s_endpgm
	.section	.rodata,"a",@progbits
	.p2align	6, 0x0
	.amdhsa_kernel _Z11fill_kernelIaZ21hipblaslt_init_deviceIaEv8ABC_dims24hipblaslt_initializationbPT_mmmmmEUlmE_EvS4_mmT0_
		.amdhsa_group_segment_fixed_size 0
		.amdhsa_private_segment_fixed_size 0
		.amdhsa_kernarg_size 384
		.amdhsa_user_sgpr_count 2
		.amdhsa_user_sgpr_dispatch_ptr 0
		.amdhsa_user_sgpr_queue_ptr 0
		.amdhsa_user_sgpr_kernarg_segment_ptr 1
		.amdhsa_user_sgpr_dispatch_id 0
		.amdhsa_user_sgpr_kernarg_preload_length 0
		.amdhsa_user_sgpr_kernarg_preload_offset 0
		.amdhsa_user_sgpr_private_segment_size 0
		.amdhsa_wavefront_size32 1
		.amdhsa_uses_dynamic_stack 0
		.amdhsa_enable_private_segment 0
		.amdhsa_system_sgpr_workgroup_id_x 1
		.amdhsa_system_sgpr_workgroup_id_y 0
		.amdhsa_system_sgpr_workgroup_id_z 0
		.amdhsa_system_sgpr_workgroup_info 0
		.amdhsa_system_vgpr_workitem_id 0
		.amdhsa_next_free_vgpr 6
		.amdhsa_next_free_sgpr 10
		.amdhsa_named_barrier_count 0
		.amdhsa_reserve_vcc 0
		.amdhsa_float_round_mode_32 0
		.amdhsa_float_round_mode_16_64 0
		.amdhsa_float_denorm_mode_32 3
		.amdhsa_float_denorm_mode_16_64 3
		.amdhsa_fp16_overflow 0
		.amdhsa_memory_ordered 1
		.amdhsa_forward_progress 1
		.amdhsa_inst_pref_size 4
		.amdhsa_round_robin_scheduling 0
		.amdhsa_exception_fp_ieee_invalid_op 0
		.amdhsa_exception_fp_denorm_src 0
		.amdhsa_exception_fp_ieee_div_zero 0
		.amdhsa_exception_fp_ieee_overflow 0
		.amdhsa_exception_fp_ieee_underflow 0
		.amdhsa_exception_fp_ieee_inexact 0
		.amdhsa_exception_int_div_zero 0
	.end_amdhsa_kernel
	.section	.text._Z11fill_kernelIaZ21hipblaslt_init_deviceIaEv8ABC_dims24hipblaslt_initializationbPT_mmmmmEUlmE_EvS4_mmT0_,"axG",@progbits,_Z11fill_kernelIaZ21hipblaslt_init_deviceIaEv8ABC_dims24hipblaslt_initializationbPT_mmmmmEUlmE_EvS4_mmT0_,comdat
.Lfunc_end99:
	.size	_Z11fill_kernelIaZ21hipblaslt_init_deviceIaEv8ABC_dims24hipblaslt_initializationbPT_mmmmmEUlmE_EvS4_mmT0_, .Lfunc_end99-_Z11fill_kernelIaZ21hipblaslt_init_deviceIaEv8ABC_dims24hipblaslt_initializationbPT_mmmmmEUlmE_EvS4_mmT0_
                                        ; -- End function
	.set _Z11fill_kernelIaZ21hipblaslt_init_deviceIaEv8ABC_dims24hipblaslt_initializationbPT_mmmmmEUlmE_EvS4_mmT0_.num_vgpr, 6
	.set _Z11fill_kernelIaZ21hipblaslt_init_deviceIaEv8ABC_dims24hipblaslt_initializationbPT_mmmmmEUlmE_EvS4_mmT0_.num_agpr, 0
	.set _Z11fill_kernelIaZ21hipblaslt_init_deviceIaEv8ABC_dims24hipblaslt_initializationbPT_mmmmmEUlmE_EvS4_mmT0_.numbered_sgpr, 10
	.set _Z11fill_kernelIaZ21hipblaslt_init_deviceIaEv8ABC_dims24hipblaslt_initializationbPT_mmmmmEUlmE_EvS4_mmT0_.num_named_barrier, 0
	.set _Z11fill_kernelIaZ21hipblaslt_init_deviceIaEv8ABC_dims24hipblaslt_initializationbPT_mmmmmEUlmE_EvS4_mmT0_.private_seg_size, 0
	.set _Z11fill_kernelIaZ21hipblaslt_init_deviceIaEv8ABC_dims24hipblaslt_initializationbPT_mmmmmEUlmE_EvS4_mmT0_.uses_vcc, 0
	.set _Z11fill_kernelIaZ21hipblaslt_init_deviceIaEv8ABC_dims24hipblaslt_initializationbPT_mmmmmEUlmE_EvS4_mmT0_.uses_flat_scratch, 0
	.set _Z11fill_kernelIaZ21hipblaslt_init_deviceIaEv8ABC_dims24hipblaslt_initializationbPT_mmmmmEUlmE_EvS4_mmT0_.has_dyn_sized_stack, 0
	.set _Z11fill_kernelIaZ21hipblaslt_init_deviceIaEv8ABC_dims24hipblaslt_initializationbPT_mmmmmEUlmE_EvS4_mmT0_.has_recursion, 0
	.set _Z11fill_kernelIaZ21hipblaslt_init_deviceIaEv8ABC_dims24hipblaslt_initializationbPT_mmmmmEUlmE_EvS4_mmT0_.has_indirect_call, 0
	.section	.AMDGPU.csdata,"",@progbits
; Kernel info:
; codeLenInByte = 392
; TotalNumSgprs: 10
; NumVgprs: 6
; ScratchSize: 0
; MemoryBound: 0
; FloatMode: 240
; IeeeMode: 1
; LDSByteSize: 0 bytes/workgroup (compile time only)
; SGPRBlocks: 0
; VGPRBlocks: 0
; NumSGPRsForWavesPerEU: 10
; NumVGPRsForWavesPerEU: 6
; NamedBarCnt: 0
; Occupancy: 16
; WaveLimiterHint : 0
; COMPUTE_PGM_RSRC2:SCRATCH_EN: 0
; COMPUTE_PGM_RSRC2:USER_SGPR: 2
; COMPUTE_PGM_RSRC2:TRAP_HANDLER: 0
; COMPUTE_PGM_RSRC2:TGID_X_EN: 1
; COMPUTE_PGM_RSRC2:TGID_Y_EN: 0
; COMPUTE_PGM_RSRC2:TGID_Z_EN: 0
; COMPUTE_PGM_RSRC2:TIDIG_COMP_CNT: 0
	.section	.text._Z11fill_kernelIaZ21hipblaslt_init_deviceIaEv8ABC_dims24hipblaslt_initializationbPT_mmmmmEUlmE0_EvS4_mmT0_,"axG",@progbits,_Z11fill_kernelIaZ21hipblaslt_init_deviceIaEv8ABC_dims24hipblaslt_initializationbPT_mmmmmEUlmE0_EvS4_mmT0_,comdat
	.protected	_Z11fill_kernelIaZ21hipblaslt_init_deviceIaEv8ABC_dims24hipblaslt_initializationbPT_mmmmmEUlmE0_EvS4_mmT0_ ; -- Begin function _Z11fill_kernelIaZ21hipblaslt_init_deviceIaEv8ABC_dims24hipblaslt_initializationbPT_mmmmmEUlmE0_EvS4_mmT0_
	.globl	_Z11fill_kernelIaZ21hipblaslt_init_deviceIaEv8ABC_dims24hipblaslt_initializationbPT_mmmmmEUlmE0_EvS4_mmT0_
	.p2align	8
	.type	_Z11fill_kernelIaZ21hipblaslt_init_deviceIaEv8ABC_dims24hipblaslt_initializationbPT_mmmmmEUlmE0_EvS4_mmT0_,@function
_Z11fill_kernelIaZ21hipblaslt_init_deviceIaEv8ABC_dims24hipblaslt_initializationbPT_mmmmmEUlmE0_EvS4_mmT0_: ; @_Z11fill_kernelIaZ21hipblaslt_init_deviceIaEv8ABC_dims24hipblaslt_initializationbPT_mmmmmEUlmE0_EvS4_mmT0_
; %bb.0:
	s_clause 0x1
	s_load_b32 s2, s[0:1], 0x2c
	s_load_b128 s[4:7], s[0:1], 0x0
	s_bfe_u32 s3, ttmp6, 0x4000c
	s_and_b32 s8, ttmp6, 15
	s_add_co_i32 s3, s3, 1
	s_getreg_b32 s9, hwreg(HW_REG_IB_STS2, 6, 4)
	s_mul_i32 s3, ttmp9, s3
	v_mov_b32_e32 v1, 0
	s_add_co_i32 s8, s8, s3
	s_wait_kmcnt 0x0
	s_and_b32 s2, s2, 0xffff
	s_cmp_eq_u32 s9, 0
	s_cselect_b32 s3, ttmp9, s8
	s_delay_alu instid0(SALU_CYCLE_1) | instskip(SKIP_1) | instid1(VALU_DEP_1)
	v_mad_u32 v0, s3, s2, v0
	s_mov_b32 s2, exec_lo
	v_cmpx_gt_u64_e64 s[6:7], v[0:1]
	s_cbranch_execz .LBB100_2
; %bb.1:
	s_load_b64 s[0:1], s[0:1], 0x10
	s_wait_kmcnt 0x0
	v_add_nc_u64_e32 v[0:1], s[0:1], v[0:1]
	s_mov_b32 s0, 0x19660d
	s_delay_alu instid0(VALU_DEP_1) | instid1(SALU_CYCLE_1)
	v_mad_nc_u64_u32 v[2:3], v0, s0, 0x3c6ef35f
	s_delay_alu instid0(VALU_DEP_1) | instskip(SKIP_1) | instid1(VALU_DEP_2)
	v_mad_u32 v3, 0x19660d, v1, v3
	v_add_nc_u64_e32 v[0:1], s[4:5], v[0:1]
	v_lshlrev_b64_e32 v[4:5], 13, v[2:3]
	s_delay_alu instid0(VALU_DEP_1) | instskip(NEXT) | instid1(VALU_DEP_2)
	v_xor_b32_e32 v3, v5, v3
	v_xor_b32_e32 v2, v4, v2
	s_delay_alu instid0(VALU_DEP_1) | instskip(NEXT) | instid1(VALU_DEP_1)
	v_lshrrev_b64 v[4:5], 17, v[2:3]
	v_xor_b32_e32 v3, v5, v3
	s_delay_alu instid0(VALU_DEP_2) | instskip(NEXT) | instid1(VALU_DEP_1)
	v_xor_b32_e32 v2, v4, v2
	v_lshlrev_b64_e32 v[4:5], 5, v[2:3]
	s_delay_alu instid0(VALU_DEP_1) | instskip(NEXT) | instid1(VALU_DEP_2)
	v_xor_b32_e32 v3, v5, v3
	v_xor_b32_e32 v2, v4, v2
	s_delay_alu instid0(VALU_DEP_1) | instskip(NEXT) | instid1(VALU_DEP_1)
	v_lshlrev_b64_e32 v[4:5], 13, v[2:3]
	v_xor_b32_e32 v3, v5, v3
	s_delay_alu instid0(VALU_DEP_2) | instskip(NEXT) | instid1(VALU_DEP_1)
	v_xor_b32_e32 v2, v4, v2
	v_lshrrev_b64 v[4:5], 17, v[2:3]
	s_delay_alu instid0(VALU_DEP_1) | instskip(NEXT) | instid1(VALU_DEP_2)
	v_xor_b32_e32 v3, v5, v3
	v_xor_b32_e32 v2, v4, v2
	s_delay_alu instid0(VALU_DEP_1) | instskip(NEXT) | instid1(VALU_DEP_1)
	v_lshlrev_b64_e32 v[4:5], 5, v[2:3]
	v_xor_b32_e32 v3, v5, v3
	s_delay_alu instid0(VALU_DEP_2) | instskip(NEXT) | instid1(VALU_DEP_1)
	v_xor_b32_e32 v2, v4, v2
	v_lshlrev_b64_e32 v[4:5], 13, v[2:3]
	s_delay_alu instid0(VALU_DEP_1) | instskip(NEXT) | instid1(VALU_DEP_2)
	v_xor_b32_e32 v3, v5, v3
	v_xor_b32_e32 v2, v4, v2
	s_delay_alu instid0(VALU_DEP_1) | instskip(NEXT) | instid1(VALU_DEP_1)
	v_alignbit_b32 v3, v3, v2, 17
	v_xor_b32_e32 v2, v3, v2
	s_delay_alu instid0(VALU_DEP_1) | instskip(NEXT) | instid1(VALU_DEP_1)
	v_lshlrev_b32_e32 v3, 5, v2
	v_xor_b32_e32 v2, v3, v2
	s_delay_alu instid0(VALU_DEP_1) | instskip(NEXT) | instid1(VALU_DEP_1)
	v_mul_hi_u32 v3, 0xaaaaaaab, v2
	v_lshrrev_b32_e32 v3, 1, v3
	s_delay_alu instid0(VALU_DEP_1) | instskip(NEXT) | instid1(VALU_DEP_1)
	v_lshl_add_u32 v3, v3, 1, v3
	v_sub_nc_u32_e32 v2, v2, v3
	s_delay_alu instid0(VALU_DEP_1)
	v_add_nc_u16 v2, v2, 1
	global_store_b8 v[0:1], v2, off
.LBB100_2:
	s_endpgm
	.section	.rodata,"a",@progbits
	.p2align	6, 0x0
	.amdhsa_kernel _Z11fill_kernelIaZ21hipblaslt_init_deviceIaEv8ABC_dims24hipblaslt_initializationbPT_mmmmmEUlmE0_EvS4_mmT0_
		.amdhsa_group_segment_fixed_size 0
		.amdhsa_private_segment_fixed_size 0
		.amdhsa_kernarg_size 288
		.amdhsa_user_sgpr_count 2
		.amdhsa_user_sgpr_dispatch_ptr 0
		.amdhsa_user_sgpr_queue_ptr 0
		.amdhsa_user_sgpr_kernarg_segment_ptr 1
		.amdhsa_user_sgpr_dispatch_id 0
		.amdhsa_user_sgpr_kernarg_preload_length 0
		.amdhsa_user_sgpr_kernarg_preload_offset 0
		.amdhsa_user_sgpr_private_segment_size 0
		.amdhsa_wavefront_size32 1
		.amdhsa_uses_dynamic_stack 0
		.amdhsa_enable_private_segment 0
		.amdhsa_system_sgpr_workgroup_id_x 1
		.amdhsa_system_sgpr_workgroup_id_y 0
		.amdhsa_system_sgpr_workgroup_id_z 0
		.amdhsa_system_sgpr_workgroup_info 0
		.amdhsa_system_vgpr_workitem_id 0
		.amdhsa_next_free_vgpr 6
		.amdhsa_next_free_sgpr 10
		.amdhsa_named_barrier_count 0
		.amdhsa_reserve_vcc 0
		.amdhsa_float_round_mode_32 0
		.amdhsa_float_round_mode_16_64 0
		.amdhsa_float_denorm_mode_32 3
		.amdhsa_float_denorm_mode_16_64 3
		.amdhsa_fp16_overflow 0
		.amdhsa_memory_ordered 1
		.amdhsa_forward_progress 1
		.amdhsa_inst_pref_size 3
		.amdhsa_round_robin_scheduling 0
		.amdhsa_exception_fp_ieee_invalid_op 0
		.amdhsa_exception_fp_denorm_src 0
		.amdhsa_exception_fp_ieee_div_zero 0
		.amdhsa_exception_fp_ieee_overflow 0
		.amdhsa_exception_fp_ieee_underflow 0
		.amdhsa_exception_fp_ieee_inexact 0
		.amdhsa_exception_int_div_zero 0
	.end_amdhsa_kernel
	.section	.text._Z11fill_kernelIaZ21hipblaslt_init_deviceIaEv8ABC_dims24hipblaslt_initializationbPT_mmmmmEUlmE0_EvS4_mmT0_,"axG",@progbits,_Z11fill_kernelIaZ21hipblaslt_init_deviceIaEv8ABC_dims24hipblaslt_initializationbPT_mmmmmEUlmE0_EvS4_mmT0_,comdat
.Lfunc_end100:
	.size	_Z11fill_kernelIaZ21hipblaslt_init_deviceIaEv8ABC_dims24hipblaslt_initializationbPT_mmmmmEUlmE0_EvS4_mmT0_, .Lfunc_end100-_Z11fill_kernelIaZ21hipblaslt_init_deviceIaEv8ABC_dims24hipblaslt_initializationbPT_mmmmmEUlmE0_EvS4_mmT0_
                                        ; -- End function
	.set _Z11fill_kernelIaZ21hipblaslt_init_deviceIaEv8ABC_dims24hipblaslt_initializationbPT_mmmmmEUlmE0_EvS4_mmT0_.num_vgpr, 6
	.set _Z11fill_kernelIaZ21hipblaslt_init_deviceIaEv8ABC_dims24hipblaslt_initializationbPT_mmmmmEUlmE0_EvS4_mmT0_.num_agpr, 0
	.set _Z11fill_kernelIaZ21hipblaslt_init_deviceIaEv8ABC_dims24hipblaslt_initializationbPT_mmmmmEUlmE0_EvS4_mmT0_.numbered_sgpr, 10
	.set _Z11fill_kernelIaZ21hipblaslt_init_deviceIaEv8ABC_dims24hipblaslt_initializationbPT_mmmmmEUlmE0_EvS4_mmT0_.num_named_barrier, 0
	.set _Z11fill_kernelIaZ21hipblaslt_init_deviceIaEv8ABC_dims24hipblaslt_initializationbPT_mmmmmEUlmE0_EvS4_mmT0_.private_seg_size, 0
	.set _Z11fill_kernelIaZ21hipblaslt_init_deviceIaEv8ABC_dims24hipblaslt_initializationbPT_mmmmmEUlmE0_EvS4_mmT0_.uses_vcc, 0
	.set _Z11fill_kernelIaZ21hipblaslt_init_deviceIaEv8ABC_dims24hipblaslt_initializationbPT_mmmmmEUlmE0_EvS4_mmT0_.uses_flat_scratch, 0
	.set _Z11fill_kernelIaZ21hipblaslt_init_deviceIaEv8ABC_dims24hipblaslt_initializationbPT_mmmmmEUlmE0_EvS4_mmT0_.has_dyn_sized_stack, 0
	.set _Z11fill_kernelIaZ21hipblaslt_init_deviceIaEv8ABC_dims24hipblaslt_initializationbPT_mmmmmEUlmE0_EvS4_mmT0_.has_recursion, 0
	.set _Z11fill_kernelIaZ21hipblaslt_init_deviceIaEv8ABC_dims24hipblaslt_initializationbPT_mmmmmEUlmE0_EvS4_mmT0_.has_indirect_call, 0
	.section	.AMDGPU.csdata,"",@progbits
; Kernel info:
; codeLenInByte = 384
; TotalNumSgprs: 10
; NumVgprs: 6
; ScratchSize: 0
; MemoryBound: 0
; FloatMode: 240
; IeeeMode: 1
; LDSByteSize: 0 bytes/workgroup (compile time only)
; SGPRBlocks: 0
; VGPRBlocks: 0
; NumSGPRsForWavesPerEU: 10
; NumVGPRsForWavesPerEU: 6
; NamedBarCnt: 0
; Occupancy: 16
; WaveLimiterHint : 0
; COMPUTE_PGM_RSRC2:SCRATCH_EN: 0
; COMPUTE_PGM_RSRC2:USER_SGPR: 2
; COMPUTE_PGM_RSRC2:TRAP_HANDLER: 0
; COMPUTE_PGM_RSRC2:TGID_X_EN: 1
; COMPUTE_PGM_RSRC2:TGID_Y_EN: 0
; COMPUTE_PGM_RSRC2:TGID_Z_EN: 0
; COMPUTE_PGM_RSRC2:TIDIG_COMP_CNT: 0
	.section	.text._Z11fill_kernelIaZ21hipblaslt_init_deviceIaEv8ABC_dims24hipblaslt_initializationbPT_mmmmmEUlmE1_EvS4_mmT0_,"axG",@progbits,_Z11fill_kernelIaZ21hipblaslt_init_deviceIaEv8ABC_dims24hipblaslt_initializationbPT_mmmmmEUlmE1_EvS4_mmT0_,comdat
	.protected	_Z11fill_kernelIaZ21hipblaslt_init_deviceIaEv8ABC_dims24hipblaslt_initializationbPT_mmmmmEUlmE1_EvS4_mmT0_ ; -- Begin function _Z11fill_kernelIaZ21hipblaslt_init_deviceIaEv8ABC_dims24hipblaslt_initializationbPT_mmmmmEUlmE1_EvS4_mmT0_
	.globl	_Z11fill_kernelIaZ21hipblaslt_init_deviceIaEv8ABC_dims24hipblaslt_initializationbPT_mmmmmEUlmE1_EvS4_mmT0_
	.p2align	8
	.type	_Z11fill_kernelIaZ21hipblaslt_init_deviceIaEv8ABC_dims24hipblaslt_initializationbPT_mmmmmEUlmE1_EvS4_mmT0_,@function
_Z11fill_kernelIaZ21hipblaslt_init_deviceIaEv8ABC_dims24hipblaslt_initializationbPT_mmmmmEUlmE1_EvS4_mmT0_: ; @_Z11fill_kernelIaZ21hipblaslt_init_deviceIaEv8ABC_dims24hipblaslt_initializationbPT_mmmmmEUlmE1_EvS4_mmT0_
; %bb.0:
	s_clause 0x1
	s_load_b32 s2, s[0:1], 0x34
	s_load_b128 s[4:7], s[0:1], 0x0
	s_bfe_u32 s3, ttmp6, 0x4000c
	s_and_b32 s8, ttmp6, 15
	s_add_co_i32 s3, s3, 1
	s_getreg_b32 s9, hwreg(HW_REG_IB_STS2, 6, 4)
	s_mul_i32 s3, ttmp9, s3
	v_mov_b32_e32 v3, 0
	s_add_co_i32 s8, s8, s3
	s_wait_kmcnt 0x0
	s_and_b32 s2, s2, 0xffff
	s_cmp_eq_u32 s9, 0
	s_cselect_b32 s3, ttmp9, s8
	s_delay_alu instid0(SALU_CYCLE_1) | instskip(SKIP_1) | instid1(VALU_DEP_1)
	v_mad_u32 v2, s3, s2, v0
	s_mov_b32 s2, exec_lo
	v_cmpx_gt_u64_e64 s[6:7], v[2:3]
	s_cbranch_execz .LBB101_10
; %bb.1:
	s_clause 0x1
	s_load_b64 s[2:3], s[0:1], 0x10
	s_load_b128 s[8:11], s[0:1], 0x18
	s_wait_xcnt 0x0
	s_mov_b32 s0, exec_lo
	v_mov_b32_e32 v4, v3
	s_wait_kmcnt 0x0
	v_add_nc_u64_e32 v[0:1], s[2:3], v[2:3]
                                        ; implicit-def: $vgpr2_vgpr3
	s_delay_alu instid0(VALU_DEP_1) | instskip(NEXT) | instid1(VALU_DEP_1)
	v_or_b32_e32 v5, s9, v1
	v_cmpx_ne_u64_e32 0, v[4:5]
	s_xor_b32 s1, exec_lo, s0
	s_cbranch_execz .LBB101_3
; %bb.2:
	s_cvt_f32_u32 s0, s8
	s_cvt_f32_u32 s2, s9
	s_sub_nc_u64 s[6:7], 0, s[8:9]
	s_mov_b32 s15, 0
	v_dual_mov_b32 v3, 0 :: v_dual_mov_b32 v2, v0
	s_fmamk_f32 s0, s2, 0x4f800000, s0
	s_delay_alu instid0(SALU_CYCLE_3) | instskip(NEXT) | instid1(TRANS32_DEP_1)
	v_s_rcp_f32 s0, s0
	s_mul_f32 s0, s0, 0x5f7ffffc
	s_delay_alu instid0(SALU_CYCLE_3) | instskip(NEXT) | instid1(SALU_CYCLE_3)
	s_mul_f32 s2, s0, 0x2f800000
	s_trunc_f32 s2, s2
	s_delay_alu instid0(SALU_CYCLE_3) | instskip(SKIP_1) | instid1(SALU_CYCLE_2)
	s_fmamk_f32 s0, s2, 0xcf800000, s0
	s_cvt_u32_f32 s3, s2
	s_cvt_u32_f32 s2, s0
	s_delay_alu instid0(SALU_CYCLE_3) | instskip(NEXT) | instid1(SALU_CYCLE_1)
	s_mul_u64 s[12:13], s[6:7], s[2:3]
	s_mul_hi_u32 s17, s2, s13
	s_mul_i32 s16, s2, s13
	s_mul_hi_u32 s14, s2, s12
	s_mul_i32 s18, s3, s12
	s_add_nc_u64 s[16:17], s[14:15], s[16:17]
	s_mul_hi_u32 s0, s3, s12
	s_mul_hi_u32 s19, s3, s13
	s_mul_i32 s12, s3, s13
	s_add_co_u32 s13, s16, s18
	s_add_co_ci_u32 s14, s17, s0
	s_add_co_ci_u32 s13, s19, 0
	s_delay_alu instid0(SALU_CYCLE_1) | instskip(NEXT) | instid1(SALU_CYCLE_1)
	s_add_nc_u64 s[12:13], s[14:15], s[12:13]
	s_add_co_u32 s2, s2, s12
	s_cselect_b32 s0, -1, 0
	s_delay_alu instid0(SALU_CYCLE_1) | instskip(SKIP_1) | instid1(SALU_CYCLE_1)
	s_cmp_lg_u32 s0, 0
	s_add_co_ci_u32 s3, s3, s13
	s_mul_u64 s[6:7], s[6:7], s[2:3]
	s_delay_alu instid0(SALU_CYCLE_1)
	s_mul_hi_u32 s13, s2, s7
	s_mul_i32 s12, s2, s7
	s_mul_hi_u32 s14, s2, s6
	s_mul_i32 s16, s3, s6
	s_add_nc_u64 s[12:13], s[14:15], s[12:13]
	s_mul_hi_u32 s0, s3, s6
	s_mul_hi_u32 s17, s3, s7
	s_mul_i32 s6, s3, s7
	s_add_co_u32 s7, s12, s16
	s_add_co_ci_u32 s14, s13, s0
	s_add_co_ci_u32 s7, s17, 0
	s_delay_alu instid0(SALU_CYCLE_1) | instskip(NEXT) | instid1(SALU_CYCLE_1)
	s_add_nc_u64 s[6:7], s[14:15], s[6:7]
	s_add_co_u32 s0, s2, s6
	s_cselect_b32 s2, -1, 0
	s_delay_alu instid0(SALU_CYCLE_1)
	s_cmp_lg_u32 s2, 0
	s_add_co_ci_u32 s14, s3, s7
	s_mov_b64 s[2:3], 0xffffffff
	v_mul_u64_e32 v[4:5], s[14:15], v[2:3]
	v_mul_hi_u32 v2, v0, s0
	s_and_b64 s[2:3], s[0:1], s[2:3]
	s_delay_alu instid0(VALU_DEP_1) | instskip(SKIP_1) | instid1(VALU_DEP_1)
	v_add_nc_u64_e32 v[4:5], v[2:3], v[4:5]
	v_mov_b32_e32 v2, v1
	v_mul_u64_e32 v[6:7], s[2:3], v[2:3]
	v_mul_u64_e32 v[8:9], s[14:15], v[2:3]
	s_delay_alu instid0(VALU_DEP_2) | instskip(NEXT) | instid1(VALU_DEP_3)
	v_add_co_u32 v2, vcc_lo, v4, v6
	v_add_co_ci_u32_e32 v2, vcc_lo, v5, v7, vcc_lo
	s_delay_alu instid0(VALU_DEP_3) | instskip(NEXT) | instid1(VALU_DEP_1)
	v_add_co_ci_u32_e32 v9, vcc_lo, 0, v9, vcc_lo
	v_add_nc_u64_e32 v[2:3], v[2:3], v[8:9]
	s_delay_alu instid0(VALU_DEP_1) | instskip(NEXT) | instid1(VALU_DEP_1)
	v_mul_u64_e32 v[2:3], s[8:9], v[2:3]
	v_sub_nc_u32_e32 v4, v1, v3
	s_delay_alu instid0(VALU_DEP_2) | instskip(NEXT) | instid1(VALU_DEP_1)
	v_sub_co_u32 v2, vcc_lo, v0, v2
	v_sub_co_ci_u32_e64 v3, null, v1, v3, vcc_lo
	s_delay_alu instid0(VALU_DEP_3) | instskip(NEXT) | instid1(VALU_DEP_3)
	v_subrev_co_ci_u32_e64 v4, null, s9, v4, vcc_lo
	v_sub_co_u32 v5, vcc_lo, v2, s8
	v_cmp_le_u32_e64 s0, s8, v2
	s_delay_alu instid0(VALU_DEP_3) | instskip(SKIP_1) | instid1(VALU_DEP_3)
	v_subrev_co_ci_u32_e64 v6, null, 0, v4, vcc_lo
	v_subrev_co_ci_u32_e64 v4, null, s9, v4, vcc_lo
	v_cndmask_b32_e64 v7, 0, -1, s0
	v_cmp_le_u32_e64 s0, s8, v5
	v_cmp_le_u32_e32 vcc_lo, s9, v3
	s_delay_alu instid0(VALU_DEP_2) | instskip(SKIP_3) | instid1(VALU_DEP_3)
	v_cndmask_b32_e64 v8, 0, -1, s0
	v_cmp_le_u32_e64 s0, s9, v6
	v_cndmask_b32_e64 v10, 0, -1, vcc_lo
	v_cmp_eq_u32_e32 vcc_lo, s9, v6
	v_cndmask_b32_e64 v9, 0, -1, s0
	v_cmp_eq_u32_e64 s0, s9, v3
	s_delay_alu instid0(VALU_DEP_1) | instskip(SKIP_1) | instid1(VALU_DEP_1)
	v_dual_cndmask_b32 v8, v9, v8, vcc_lo :: v_dual_cndmask_b32 v7, v10, v7, s0
	v_sub_co_u32 v9, vcc_lo, v5, s8
	v_subrev_co_ci_u32_e64 v4, null, 0, v4, vcc_lo
	s_delay_alu instid0(VALU_DEP_3) | instskip(NEXT) | instid1(VALU_DEP_2)
	v_cmp_ne_u32_e32 vcc_lo, 0, v8
	v_dual_cndmask_b32 v4, v6, v4 :: v_dual_cndmask_b32 v5, v5, v9
	v_cmp_ne_u32_e32 vcc_lo, 0, v7
	s_delay_alu instid0(VALU_DEP_2)
	v_dual_cndmask_b32 v3, v3, v4 :: v_dual_cndmask_b32 v2, v2, v5
.LBB101_3:
	s_and_not1_saveexec_b32 s0, s1
	s_cbranch_execz .LBB101_5
; %bb.4:
	v_cvt_f32_u32_e32 v2, s8
	s_sub_co_i32 s1, 0, s8
	s_delay_alu instid0(VALU_DEP_1) | instskip(SKIP_1) | instid1(TRANS32_DEP_1)
	v_rcp_iflag_f32_e32 v2, v2
	v_nop
	v_mul_f32_e32 v2, 0x4f7ffffe, v2
	s_delay_alu instid0(VALU_DEP_1) | instskip(NEXT) | instid1(VALU_DEP_1)
	v_cvt_u32_f32_e32 v2, v2
	v_mul_lo_u32 v3, s1, v2
	s_delay_alu instid0(VALU_DEP_1) | instskip(NEXT) | instid1(VALU_DEP_1)
	v_mul_hi_u32 v3, v2, v3
	v_add_nc_u32_e32 v2, v2, v3
	s_delay_alu instid0(VALU_DEP_1) | instskip(NEXT) | instid1(VALU_DEP_1)
	v_mul_hi_u32 v2, v0, v2
	v_mul_lo_u32 v2, v2, s8
	s_delay_alu instid0(VALU_DEP_1) | instskip(NEXT) | instid1(VALU_DEP_1)
	v_sub_nc_u32_e32 v2, v0, v2
	v_subrev_nc_u32_e32 v3, s8, v2
	v_cmp_le_u32_e32 vcc_lo, s8, v2
	s_delay_alu instid0(VALU_DEP_2) | instskip(NEXT) | instid1(VALU_DEP_1)
	v_cndmask_b32_e32 v2, v2, v3, vcc_lo
	v_subrev_nc_u32_e32 v3, s8, v2
	v_cmp_le_u32_e32 vcc_lo, s8, v2
	s_delay_alu instid0(VALU_DEP_2)
	v_dual_cndmask_b32 v2, v2, v3 :: v_dual_mov_b32 v3, 0
.LBB101_5:
	s_or_b32 exec_lo, exec_lo, s0
	s_delay_alu instid0(VALU_DEP_1) | instskip(SKIP_1) | instid1(VALU_DEP_1)
	v_dual_mov_b32 v4, 0 :: v_dual_bitop2_b32 v5, s11, v3 bitop3:0x54
                                        ; implicit-def: $vgpr6_vgpr7
	s_mov_b32 s0, exec_lo
	v_cmpx_ne_u64_e32 0, v[4:5]
	s_xor_b32 s1, exec_lo, s0
	s_cbranch_execz .LBB101_7
; %bb.6:
	s_cvt_f32_u32 s0, s10
	s_cvt_f32_u32 s2, s11
	s_sub_nc_u64 s[6:7], 0, s[10:11]
	s_mov_b32 s13, 0
	v_dual_mov_b32 v6, v2 :: v_dual_mov_b32 v7, v4
	s_fmamk_f32 s0, s2, 0x4f800000, s0
	v_dual_mov_b32 v8, v3 :: v_dual_mov_b32 v9, v4
	v_dual_mov_b32 v13, v4 :: v_dual_mov_b32 v5, v4
	s_delay_alu instid0(SALU_CYCLE_1) | instskip(NEXT) | instid1(TRANS32_DEP_1)
	v_s_rcp_f32 s0, s0
	s_mul_f32 s0, s0, 0x5f7ffffc
	s_delay_alu instid0(SALU_CYCLE_3) | instskip(NEXT) | instid1(SALU_CYCLE_3)
	s_mul_f32 s2, s0, 0x2f800000
	s_trunc_f32 s2, s2
	s_delay_alu instid0(SALU_CYCLE_3) | instskip(SKIP_1) | instid1(SALU_CYCLE_2)
	s_fmamk_f32 s0, s2, 0xcf800000, s0
	s_cvt_u32_f32 s3, s2
	s_cvt_u32_f32 s2, s0
	s_delay_alu instid0(SALU_CYCLE_3) | instskip(NEXT) | instid1(SALU_CYCLE_1)
	s_mul_u64 s[8:9], s[6:7], s[2:3]
	s_mul_hi_u32 s15, s2, s9
	s_mul_i32 s14, s2, s9
	s_mul_hi_u32 s12, s2, s8
	s_mul_i32 s16, s3, s8
	s_add_nc_u64 s[14:15], s[12:13], s[14:15]
	s_mul_hi_u32 s0, s3, s8
	s_mul_hi_u32 s17, s3, s9
	s_mul_i32 s8, s3, s9
	s_add_co_u32 s9, s14, s16
	s_add_co_ci_u32 s12, s15, s0
	s_add_co_ci_u32 s9, s17, 0
	s_delay_alu instid0(SALU_CYCLE_1) | instskip(NEXT) | instid1(SALU_CYCLE_1)
	s_add_nc_u64 s[8:9], s[12:13], s[8:9]
	s_add_co_u32 s2, s2, s8
	s_cselect_b32 s0, -1, 0
	s_delay_alu instid0(SALU_CYCLE_1) | instskip(SKIP_1) | instid1(SALU_CYCLE_1)
	s_cmp_lg_u32 s0, 0
	s_add_co_ci_u32 s3, s3, s9
	s_mul_u64 s[6:7], s[6:7], s[2:3]
	s_delay_alu instid0(SALU_CYCLE_1)
	s_mul_hi_u32 s9, s2, s7
	s_mul_i32 s8, s2, s7
	s_mul_hi_u32 s12, s2, s6
	s_mul_i32 s14, s3, s6
	s_add_nc_u64 s[8:9], s[12:13], s[8:9]
	s_mul_hi_u32 s0, s3, s6
	s_mul_hi_u32 s15, s3, s7
	s_mul_i32 s6, s3, s7
	s_add_co_u32 s7, s8, s14
	s_add_co_ci_u32 s12, s9, s0
	s_add_co_ci_u32 s7, s15, 0
	s_delay_alu instid0(SALU_CYCLE_1) | instskip(NEXT) | instid1(SALU_CYCLE_1)
	s_add_nc_u64 s[6:7], s[12:13], s[6:7]
	s_add_co_u32 s0, s2, s6
	s_cselect_b32 s2, -1, 0
	v_nop
	v_mul_hi_u32 v12, v2, s0
	s_cmp_lg_u32 s2, 0
	s_add_co_ci_u32 s12, s3, s7
	s_mov_b64 s[2:3], 0xffffffff
	v_mul_u64_e32 v[6:7], s[12:13], v[6:7]
	s_and_b64 s[2:3], s[0:1], s[2:3]
	s_delay_alu instid0(SALU_CYCLE_1) | instskip(SKIP_1) | instid1(VALU_DEP_3)
	v_mul_u64_e32 v[10:11], s[2:3], v[8:9]
	v_mul_u64_e32 v[8:9], s[12:13], v[8:9]
	v_add_nc_u64_e32 v[6:7], v[12:13], v[6:7]
	s_delay_alu instid0(VALU_DEP_1) | instskip(NEXT) | instid1(VALU_DEP_2)
	v_add_co_u32 v4, vcc_lo, v6, v10
	v_add_co_ci_u32_e32 v4, vcc_lo, v7, v11, vcc_lo
	s_delay_alu instid0(VALU_DEP_4) | instskip(NEXT) | instid1(VALU_DEP_1)
	v_add_co_ci_u32_e32 v9, vcc_lo, 0, v9, vcc_lo
	v_add_nc_u64_e32 v[4:5], v[4:5], v[8:9]
	s_delay_alu instid0(VALU_DEP_1) | instskip(SKIP_1) | instid1(VALU_DEP_2)
	v_mul_u64_e32 v[6:7], s[10:11], v[4:5]
	v_add_nc_u64_e32 v[8:9], 2, v[4:5]
	v_sub_nc_u32_e32 v10, v3, v7
	s_delay_alu instid0(VALU_DEP_3) | instskip(NEXT) | instid1(VALU_DEP_1)
	v_sub_co_u32 v6, vcc_lo, v2, v6
	v_sub_co_ci_u32_e64 v3, null, v3, v7, vcc_lo
	s_delay_alu instid0(VALU_DEP_3) | instskip(SKIP_1) | instid1(VALU_DEP_4)
	v_subrev_co_ci_u32_e64 v9, null, s11, v10, vcc_lo
	v_add_nc_u64_e32 v[10:11], 1, v[4:5]
	v_sub_co_u32 v5, s0, v6, s10
	s_delay_alu instid0(VALU_DEP_1) | instskip(NEXT) | instid1(VALU_DEP_2)
	v_subrev_co_ci_u32_e64 v9, null, 0, v9, s0
	v_cmp_le_u32_e32 vcc_lo, s10, v5
	v_cndmask_b32_e64 v5, 0, -1, vcc_lo
	s_delay_alu instid0(VALU_DEP_3)
	v_cmp_le_u32_e32 vcc_lo, s11, v9
	v_cndmask_b32_e64 v7, 0, -1, vcc_lo
	v_cmp_le_u32_e32 vcc_lo, s10, v6
	v_cndmask_b32_e64 v6, 0, -1, vcc_lo
	;; [unrolled: 2-line block ×3, first 2 shown]
	v_cmp_eq_u32_e32 vcc_lo, s11, v9
	v_cndmask_b32_e32 v5, v7, v5, vcc_lo
	v_cmp_eq_u32_e32 vcc_lo, s11, v3
	s_delay_alu instid0(VALU_DEP_4) | instskip(NEXT) | instid1(VALU_DEP_3)
	v_cndmask_b32_e32 v3, v11, v6, vcc_lo
	v_cmp_ne_u32_e32 vcc_lo, 0, v5
	v_cndmask_b32_e32 v5, v10, v8, vcc_lo
	s_delay_alu instid0(VALU_DEP_3) | instskip(NEXT) | instid1(VALU_DEP_2)
	v_cmp_ne_u32_e32 vcc_lo, 0, v3
	v_cndmask_b32_e32 v6, v4, v5, vcc_lo
.LBB101_7:
	s_and_not1_saveexec_b32 s0, s1
	s_cbranch_execz .LBB101_9
; %bb.8:
	v_cvt_f32_u32_e32 v3, s10
	s_sub_co_i32 s1, 0, s10
	s_delay_alu instid0(VALU_DEP_1) | instskip(SKIP_1) | instid1(TRANS32_DEP_1)
	v_rcp_iflag_f32_e32 v3, v3
	v_nop
	v_mul_f32_e32 v3, 0x4f7ffffe, v3
	s_delay_alu instid0(VALU_DEP_1) | instskip(NEXT) | instid1(VALU_DEP_1)
	v_cvt_u32_f32_e32 v3, v3
	v_mul_lo_u32 v4, s1, v3
	s_delay_alu instid0(VALU_DEP_1) | instskip(NEXT) | instid1(VALU_DEP_1)
	v_mul_hi_u32 v4, v3, v4
	v_add_nc_u32_e32 v3, v3, v4
	s_delay_alu instid0(VALU_DEP_1) | instskip(NEXT) | instid1(VALU_DEP_1)
	v_mul_hi_u32 v3, v2, v3
	v_mul_lo_u32 v4, v3, s10
	s_delay_alu instid0(VALU_DEP_1) | instskip(NEXT) | instid1(VALU_DEP_1)
	v_dual_add_nc_u32 v5, 1, v3 :: v_dual_sub_nc_u32 v4, v2, v4
	v_subrev_nc_u32_e32 v6, s10, v4
	v_cmp_le_u32_e32 vcc_lo, s10, v4
	s_delay_alu instid0(VALU_DEP_2) | instskip(NEXT) | instid1(VALU_DEP_1)
	v_dual_cndmask_b32 v4, v4, v6 :: v_dual_cndmask_b32 v3, v3, v5
	v_cmp_le_u32_e32 vcc_lo, s10, v4
	s_delay_alu instid0(VALU_DEP_2) | instskip(NEXT) | instid1(VALU_DEP_1)
	v_add_nc_u32_e32 v5, 1, v3
	v_cndmask_b32_e32 v6, v3, v5, vcc_lo
.LBB101_9:
	s_or_b32 exec_lo, exec_lo, s0
	s_mov_b32 s0, 0x19660d
	s_delay_alu instid0(SALU_CYCLE_1) | instskip(NEXT) | instid1(VALU_DEP_1)
	v_mad_nc_u64_u32 v[4:5], v0, s0, 0x3c6ef35f
	v_mad_u32 v5, 0x19660d, v1, v5
	v_add_nc_u64_e32 v[0:1], s[4:5], v[0:1]
	s_delay_alu instid0(VALU_DEP_2) | instskip(NEXT) | instid1(VALU_DEP_1)
	v_lshlrev_b64_e32 v[8:9], 13, v[4:5]
	v_xor_b32_e32 v5, v9, v5
	s_delay_alu instid0(VALU_DEP_2) | instskip(NEXT) | instid1(VALU_DEP_1)
	v_xor_b32_e32 v4, v8, v4
	v_lshrrev_b64 v[8:9], 17, v[4:5]
	s_delay_alu instid0(VALU_DEP_1) | instskip(NEXT) | instid1(VALU_DEP_2)
	v_xor_b32_e32 v5, v9, v5
	v_xor_b32_e32 v4, v8, v4
	s_delay_alu instid0(VALU_DEP_1) | instskip(NEXT) | instid1(VALU_DEP_1)
	v_lshlrev_b64_e32 v[8:9], 5, v[4:5]
	v_xor_b32_e32 v5, v9, v5
	s_delay_alu instid0(VALU_DEP_2) | instskip(NEXT) | instid1(VALU_DEP_1)
	v_xor_b32_e32 v4, v8, v4
	v_lshlrev_b64_e32 v[8:9], 13, v[4:5]
	s_delay_alu instid0(VALU_DEP_1) | instskip(NEXT) | instid1(VALU_DEP_2)
	v_xor_b32_e32 v5, v9, v5
	v_xor_b32_e32 v4, v8, v4
	s_delay_alu instid0(VALU_DEP_1) | instskip(NEXT) | instid1(VALU_DEP_1)
	v_lshrrev_b64 v[8:9], 17, v[4:5]
	v_xor_b32_e32 v5, v9, v5
	s_delay_alu instid0(VALU_DEP_2) | instskip(NEXT) | instid1(VALU_DEP_1)
	v_xor_b32_e32 v4, v8, v4
	v_lshlrev_b64_e32 v[8:9], 5, v[4:5]
	s_delay_alu instid0(VALU_DEP_1) | instskip(NEXT) | instid1(VALU_DEP_2)
	v_xor_b32_e32 v5, v9, v5
	v_xor_b32_e32 v4, v8, v4
	s_delay_alu instid0(VALU_DEP_1) | instskip(NEXT) | instid1(VALU_DEP_1)
	v_lshlrev_b64_e32 v[8:9], 13, v[4:5]
	v_xor_b32_e32 v3, v9, v5
	s_delay_alu instid0(VALU_DEP_2) | instskip(SKIP_1) | instid1(VALU_DEP_2)
	v_xor_b32_e32 v4, v8, v4
	v_mul_lo_u32 v5, v6, s10
	v_alignbit_b32 v3, v3, v4, 17
	s_delay_alu instid0(VALU_DEP_1) | instskip(NEXT) | instid1(VALU_DEP_1)
	v_dual_sub_nc_u32 v2, v2, v5 :: v_dual_bitop2_b32 v3, v3, v4 bitop3:0x14
	v_lshlrev_b32_e32 v4, 5, v3
	s_delay_alu instid0(VALU_DEP_2) | instskip(NEXT) | instid1(VALU_DEP_2)
	v_bitop3_b32 v2, v2, 1, v6 bitop3:0x48
	v_xor_b32_e32 v3, v4, v3
	s_delay_alu instid0(VALU_DEP_2) | instskip(NEXT) | instid1(VALU_DEP_2)
	v_cmp_eq_u32_e32 vcc_lo, 0, v2
	v_mul_hi_u32 v4, 0xaaaaaaab, v3
	s_delay_alu instid0(VALU_DEP_1) | instskip(NEXT) | instid1(VALU_DEP_1)
	v_lshrrev_b32_e32 v4, 1, v4
	v_lshl_add_u32 v4, v4, 1, v4
	s_delay_alu instid0(VALU_DEP_1) | instskip(NEXT) | instid1(VALU_DEP_1)
	v_sub_nc_u32_e32 v3, v3, v4
	v_add_nc_u16 v4, v3, 1
	v_xor_b32_e32 v3, -1, v3
	s_delay_alu instid0(VALU_DEP_1)
	v_cndmask_b32_e32 v2, v4, v3, vcc_lo
	global_store_b8 v[0:1], v2, off
.LBB101_10:
	s_endpgm
	.section	.rodata,"a",@progbits
	.p2align	6, 0x0
	.amdhsa_kernel _Z11fill_kernelIaZ21hipblaslt_init_deviceIaEv8ABC_dims24hipblaslt_initializationbPT_mmmmmEUlmE1_EvS4_mmT0_
		.amdhsa_group_segment_fixed_size 0
		.amdhsa_private_segment_fixed_size 0
		.amdhsa_kernarg_size 296
		.amdhsa_user_sgpr_count 2
		.amdhsa_user_sgpr_dispatch_ptr 0
		.amdhsa_user_sgpr_queue_ptr 0
		.amdhsa_user_sgpr_kernarg_segment_ptr 1
		.amdhsa_user_sgpr_dispatch_id 0
		.amdhsa_user_sgpr_kernarg_preload_length 0
		.amdhsa_user_sgpr_kernarg_preload_offset 0
		.amdhsa_user_sgpr_private_segment_size 0
		.amdhsa_wavefront_size32 1
		.amdhsa_uses_dynamic_stack 0
		.amdhsa_enable_private_segment 0
		.amdhsa_system_sgpr_workgroup_id_x 1
		.amdhsa_system_sgpr_workgroup_id_y 0
		.amdhsa_system_sgpr_workgroup_id_z 0
		.amdhsa_system_sgpr_workgroup_info 0
		.amdhsa_system_vgpr_workitem_id 0
		.amdhsa_next_free_vgpr 14
		.amdhsa_next_free_sgpr 20
		.amdhsa_named_barrier_count 0
		.amdhsa_reserve_vcc 1
		.amdhsa_float_round_mode_32 0
		.amdhsa_float_round_mode_16_64 0
		.amdhsa_float_denorm_mode_32 3
		.amdhsa_float_denorm_mode_16_64 3
		.amdhsa_fp16_overflow 0
		.amdhsa_memory_ordered 1
		.amdhsa_forward_progress 1
		.amdhsa_inst_pref_size 15
		.amdhsa_round_robin_scheduling 0
		.amdhsa_exception_fp_ieee_invalid_op 0
		.amdhsa_exception_fp_denorm_src 0
		.amdhsa_exception_fp_ieee_div_zero 0
		.amdhsa_exception_fp_ieee_overflow 0
		.amdhsa_exception_fp_ieee_underflow 0
		.amdhsa_exception_fp_ieee_inexact 0
		.amdhsa_exception_int_div_zero 0
	.end_amdhsa_kernel
	.section	.text._Z11fill_kernelIaZ21hipblaslt_init_deviceIaEv8ABC_dims24hipblaslt_initializationbPT_mmmmmEUlmE1_EvS4_mmT0_,"axG",@progbits,_Z11fill_kernelIaZ21hipblaslt_init_deviceIaEv8ABC_dims24hipblaslt_initializationbPT_mmmmmEUlmE1_EvS4_mmT0_,comdat
.Lfunc_end101:
	.size	_Z11fill_kernelIaZ21hipblaslt_init_deviceIaEv8ABC_dims24hipblaslt_initializationbPT_mmmmmEUlmE1_EvS4_mmT0_, .Lfunc_end101-_Z11fill_kernelIaZ21hipblaslt_init_deviceIaEv8ABC_dims24hipblaslt_initializationbPT_mmmmmEUlmE1_EvS4_mmT0_
                                        ; -- End function
	.set _Z11fill_kernelIaZ21hipblaslt_init_deviceIaEv8ABC_dims24hipblaslt_initializationbPT_mmmmmEUlmE1_EvS4_mmT0_.num_vgpr, 14
	.set _Z11fill_kernelIaZ21hipblaslt_init_deviceIaEv8ABC_dims24hipblaslt_initializationbPT_mmmmmEUlmE1_EvS4_mmT0_.num_agpr, 0
	.set _Z11fill_kernelIaZ21hipblaslt_init_deviceIaEv8ABC_dims24hipblaslt_initializationbPT_mmmmmEUlmE1_EvS4_mmT0_.numbered_sgpr, 20
	.set _Z11fill_kernelIaZ21hipblaslt_init_deviceIaEv8ABC_dims24hipblaslt_initializationbPT_mmmmmEUlmE1_EvS4_mmT0_.num_named_barrier, 0
	.set _Z11fill_kernelIaZ21hipblaslt_init_deviceIaEv8ABC_dims24hipblaslt_initializationbPT_mmmmmEUlmE1_EvS4_mmT0_.private_seg_size, 0
	.set _Z11fill_kernelIaZ21hipblaslt_init_deviceIaEv8ABC_dims24hipblaslt_initializationbPT_mmmmmEUlmE1_EvS4_mmT0_.uses_vcc, 1
	.set _Z11fill_kernelIaZ21hipblaslt_init_deviceIaEv8ABC_dims24hipblaslt_initializationbPT_mmmmmEUlmE1_EvS4_mmT0_.uses_flat_scratch, 0
	.set _Z11fill_kernelIaZ21hipblaslt_init_deviceIaEv8ABC_dims24hipblaslt_initializationbPT_mmmmmEUlmE1_EvS4_mmT0_.has_dyn_sized_stack, 0
	.set _Z11fill_kernelIaZ21hipblaslt_init_deviceIaEv8ABC_dims24hipblaslt_initializationbPT_mmmmmEUlmE1_EvS4_mmT0_.has_recursion, 0
	.set _Z11fill_kernelIaZ21hipblaslt_init_deviceIaEv8ABC_dims24hipblaslt_initializationbPT_mmmmmEUlmE1_EvS4_mmT0_.has_indirect_call, 0
	.section	.AMDGPU.csdata,"",@progbits
; Kernel info:
; codeLenInByte = 1812
; TotalNumSgprs: 22
; NumVgprs: 14
; ScratchSize: 0
; MemoryBound: 0
; FloatMode: 240
; IeeeMode: 1
; LDSByteSize: 0 bytes/workgroup (compile time only)
; SGPRBlocks: 0
; VGPRBlocks: 0
; NumSGPRsForWavesPerEU: 22
; NumVGPRsForWavesPerEU: 14
; NamedBarCnt: 0
; Occupancy: 16
; WaveLimiterHint : 0
; COMPUTE_PGM_RSRC2:SCRATCH_EN: 0
; COMPUTE_PGM_RSRC2:USER_SGPR: 2
; COMPUTE_PGM_RSRC2:TRAP_HANDLER: 0
; COMPUTE_PGM_RSRC2:TGID_X_EN: 1
; COMPUTE_PGM_RSRC2:TGID_Y_EN: 0
; COMPUTE_PGM_RSRC2:TGID_Z_EN: 0
; COMPUTE_PGM_RSRC2:TIDIG_COMP_CNT: 0
	.section	.text._Z11fill_kernelIaZ21hipblaslt_init_deviceIaEv8ABC_dims24hipblaslt_initializationbPT_mmmmmEUlmE2_EvS4_mmT0_,"axG",@progbits,_Z11fill_kernelIaZ21hipblaslt_init_deviceIaEv8ABC_dims24hipblaslt_initializationbPT_mmmmmEUlmE2_EvS4_mmT0_,comdat
	.protected	_Z11fill_kernelIaZ21hipblaslt_init_deviceIaEv8ABC_dims24hipblaslt_initializationbPT_mmmmmEUlmE2_EvS4_mmT0_ ; -- Begin function _Z11fill_kernelIaZ21hipblaslt_init_deviceIaEv8ABC_dims24hipblaslt_initializationbPT_mmmmmEUlmE2_EvS4_mmT0_
	.globl	_Z11fill_kernelIaZ21hipblaslt_init_deviceIaEv8ABC_dims24hipblaslt_initializationbPT_mmmmmEUlmE2_EvS4_mmT0_
	.p2align	8
	.type	_Z11fill_kernelIaZ21hipblaslt_init_deviceIaEv8ABC_dims24hipblaslt_initializationbPT_mmmmmEUlmE2_EvS4_mmT0_,@function
_Z11fill_kernelIaZ21hipblaslt_init_deviceIaEv8ABC_dims24hipblaslt_initializationbPT_mmmmmEUlmE2_EvS4_mmT0_: ; @_Z11fill_kernelIaZ21hipblaslt_init_deviceIaEv8ABC_dims24hipblaslt_initializationbPT_mmmmmEUlmE2_EvS4_mmT0_
; %bb.0:
	s_clause 0x1
	s_load_b32 s2, s[0:1], 0x44
	s_load_b128 s[12:15], s[0:1], 0x0
	s_bfe_u32 s3, ttmp6, 0x4000c
	s_and_b32 s4, ttmp6, 15
	s_add_co_i32 s3, s3, 1
	s_getreg_b32 s5, hwreg(HW_REG_IB_STS2, 6, 4)
	s_mul_i32 s3, ttmp9, s3
	v_mov_b32_e32 v3, 0
	s_add_co_i32 s4, s4, s3
	s_wait_kmcnt 0x0
	s_and_b32 s2, s2, 0xffff
	s_cmp_eq_u32 s5, 0
	s_cselect_b32 s3, ttmp9, s4
	s_delay_alu instid0(SALU_CYCLE_1) | instskip(SKIP_1) | instid1(VALU_DEP_1)
	v_mad_u32 v2, s3, s2, v0
	s_mov_b32 s2, exec_lo
	v_cmpx_gt_u64_e64 s[14:15], v[2:3]
	s_cbranch_execz .LBB102_14
; %bb.1:
	s_clause 0x1
	s_load_b64 s[2:3], s[0:1], 0x10
	s_load_b256 s[4:11], s[0:1], 0x18
	s_wait_xcnt 0x0
	s_mov_b32 s0, exec_lo
	v_mov_b32_e32 v4, v3
	s_wait_kmcnt 0x0
	v_add_nc_u64_e32 v[0:1], s[2:3], v[2:3]
                                        ; implicit-def: $vgpr2_vgpr3
	s_delay_alu instid0(VALU_DEP_1) | instskip(NEXT) | instid1(VALU_DEP_1)
	v_or_b32_e32 v5, s9, v1
	v_cmpx_ne_u64_e32 0, v[4:5]
	s_xor_b32 s1, exec_lo, s0
	s_cbranch_execz .LBB102_3
; %bb.2:
	s_cvt_f32_u32 s0, s8
	s_cvt_f32_u32 s2, s9
	s_sub_nc_u64 s[14:15], 0, s[8:9]
	s_mov_b32 s19, 0
	v_dual_mov_b32 v3, 0 :: v_dual_mov_b32 v2, v0
	s_fmamk_f32 s0, s2, 0x4f800000, s0
	s_delay_alu instid0(SALU_CYCLE_3) | instskip(NEXT) | instid1(TRANS32_DEP_1)
	v_s_rcp_f32 s0, s0
	s_mul_f32 s0, s0, 0x5f7ffffc
	s_delay_alu instid0(SALU_CYCLE_3) | instskip(NEXT) | instid1(SALU_CYCLE_3)
	s_mul_f32 s2, s0, 0x2f800000
	s_trunc_f32 s2, s2
	s_delay_alu instid0(SALU_CYCLE_3) | instskip(SKIP_1) | instid1(SALU_CYCLE_2)
	s_fmamk_f32 s0, s2, 0xcf800000, s0
	s_cvt_u32_f32 s3, s2
	s_cvt_u32_f32 s2, s0
	s_delay_alu instid0(SALU_CYCLE_3) | instskip(NEXT) | instid1(SALU_CYCLE_1)
	s_mul_u64 s[16:17], s[14:15], s[2:3]
	s_mul_hi_u32 s21, s2, s17
	s_mul_i32 s20, s2, s17
	s_mul_hi_u32 s18, s2, s16
	s_mul_i32 s22, s3, s16
	s_add_nc_u64 s[20:21], s[18:19], s[20:21]
	s_mul_hi_u32 s0, s3, s16
	s_mul_hi_u32 s23, s3, s17
	s_mul_i32 s16, s3, s17
	s_add_co_u32 s17, s20, s22
	s_add_co_ci_u32 s18, s21, s0
	s_add_co_ci_u32 s17, s23, 0
	s_delay_alu instid0(SALU_CYCLE_1) | instskip(NEXT) | instid1(SALU_CYCLE_1)
	s_add_nc_u64 s[16:17], s[18:19], s[16:17]
	s_add_co_u32 s2, s2, s16
	s_cselect_b32 s0, -1, 0
	s_delay_alu instid0(SALU_CYCLE_1) | instskip(SKIP_1) | instid1(SALU_CYCLE_1)
	s_cmp_lg_u32 s0, 0
	s_add_co_ci_u32 s3, s3, s17
	s_mul_u64 s[14:15], s[14:15], s[2:3]
	s_delay_alu instid0(SALU_CYCLE_1)
	s_mul_hi_u32 s17, s2, s15
	s_mul_i32 s16, s2, s15
	s_mul_hi_u32 s18, s2, s14
	s_mul_i32 s20, s3, s14
	s_add_nc_u64 s[16:17], s[18:19], s[16:17]
	s_mul_hi_u32 s0, s3, s14
	s_mul_hi_u32 s21, s3, s15
	s_mul_i32 s14, s3, s15
	s_add_co_u32 s15, s16, s20
	s_add_co_ci_u32 s18, s17, s0
	s_add_co_ci_u32 s15, s21, 0
	s_delay_alu instid0(SALU_CYCLE_1) | instskip(NEXT) | instid1(SALU_CYCLE_1)
	s_add_nc_u64 s[14:15], s[18:19], s[14:15]
	s_add_co_u32 s0, s2, s14
	s_cselect_b32 s2, -1, 0
	s_delay_alu instid0(SALU_CYCLE_1)
	s_cmp_lg_u32 s2, 0
	s_add_co_ci_u32 s18, s3, s15
	s_mov_b64 s[2:3], 0xffffffff
	v_mul_u64_e32 v[4:5], s[18:19], v[2:3]
	v_mul_hi_u32 v2, v0, s0
	s_and_b64 s[2:3], s[0:1], s[2:3]
	s_delay_alu instid0(VALU_DEP_1) | instskip(SKIP_1) | instid1(VALU_DEP_1)
	v_add_nc_u64_e32 v[4:5], v[2:3], v[4:5]
	v_mov_b32_e32 v2, v1
	v_mul_u64_e32 v[6:7], s[2:3], v[2:3]
	v_mul_u64_e32 v[8:9], s[18:19], v[2:3]
	s_delay_alu instid0(VALU_DEP_2) | instskip(NEXT) | instid1(VALU_DEP_3)
	v_add_co_u32 v2, vcc_lo, v4, v6
	v_add_co_ci_u32_e32 v2, vcc_lo, v5, v7, vcc_lo
	s_delay_alu instid0(VALU_DEP_3) | instskip(NEXT) | instid1(VALU_DEP_1)
	v_add_co_ci_u32_e32 v9, vcc_lo, 0, v9, vcc_lo
	v_add_nc_u64_e32 v[2:3], v[2:3], v[8:9]
	s_delay_alu instid0(VALU_DEP_1) | instskip(NEXT) | instid1(VALU_DEP_1)
	v_mul_u64_e32 v[4:5], s[8:9], v[2:3]
	v_sub_nc_u32_e32 v6, v1, v5
	s_delay_alu instid0(VALU_DEP_2) | instskip(NEXT) | instid1(VALU_DEP_1)
	v_sub_co_u32 v4, vcc_lo, v0, v4
	v_sub_co_ci_u32_e64 v11, null, v1, v5, vcc_lo
	s_delay_alu instid0(VALU_DEP_3) | instskip(NEXT) | instid1(VALU_DEP_3)
	v_subrev_co_ci_u32_e64 v6, null, s9, v6, vcc_lo
	v_sub_co_u32 v8, s0, v4, s8
	v_cmp_le_u32_e32 vcc_lo, s8, v4
	s_delay_alu instid0(VALU_DEP_3) | instskip(NEXT) | instid1(VALU_DEP_3)
	v_subrev_co_ci_u32_e64 v9, null, 0, v6, s0
	v_cmp_le_u32_e64 s0, s8, v8
	v_add_nc_u64_e32 v[6:7], 2, v[2:3]
	v_cndmask_b32_e64 v12, 0, -1, vcc_lo
	s_delay_alu instid0(VALU_DEP_4) | instskip(SKIP_3) | instid1(VALU_DEP_1)
	v_cmp_eq_u32_e32 vcc_lo, s9, v9
	v_add_nc_u64_e32 v[4:5], 1, v[2:3]
	v_cndmask_b32_e64 v8, 0, -1, s0
	v_cmp_le_u32_e64 s0, s9, v9
	v_cndmask_b32_e64 v10, 0, -1, s0
	v_cmp_eq_u32_e64 s0, s9, v11
	s_delay_alu instid0(VALU_DEP_2) | instskip(SKIP_2) | instid1(VALU_DEP_3)
	v_cndmask_b32_e32 v8, v10, v8, vcc_lo
	v_cmp_le_u32_e32 vcc_lo, s9, v11
	v_cndmask_b32_e64 v9, 0, -1, vcc_lo
	v_cmp_ne_u32_e32 vcc_lo, 0, v8
	s_delay_alu instid0(VALU_DEP_2) | instskip(SKIP_1) | instid1(VALU_DEP_2)
	v_dual_cndmask_b32 v8, v9, v12, s0 :: v_dual_cndmask_b32 v4, v4, v6, vcc_lo
	v_cndmask_b32_e32 v5, v5, v7, vcc_lo
	v_cmp_ne_u32_e32 vcc_lo, 0, v8
	s_delay_alu instid0(VALU_DEP_2)
	v_dual_cndmask_b32 v3, v3, v5 :: v_dual_cndmask_b32 v2, v2, v4
.LBB102_3:
	s_and_not1_saveexec_b32 s0, s1
	s_cbranch_execz .LBB102_5
; %bb.4:
	v_cvt_f32_u32_e32 v2, s8
	s_sub_co_i32 s1, 0, s8
	s_delay_alu instid0(VALU_DEP_1) | instskip(SKIP_1) | instid1(TRANS32_DEP_1)
	v_rcp_iflag_f32_e32 v2, v2
	v_nop
	v_mul_f32_e32 v2, 0x4f7ffffe, v2
	s_delay_alu instid0(VALU_DEP_1) | instskip(NEXT) | instid1(VALU_DEP_1)
	v_cvt_u32_f32_e32 v2, v2
	v_mul_lo_u32 v3, s1, v2
	s_delay_alu instid0(VALU_DEP_1) | instskip(NEXT) | instid1(VALU_DEP_1)
	v_mul_hi_u32 v3, v2, v3
	v_add_nc_u32_e32 v2, v2, v3
	s_delay_alu instid0(VALU_DEP_1) | instskip(NEXT) | instid1(VALU_DEP_1)
	v_mul_hi_u32 v2, v0, v2
	v_mul_lo_u32 v3, v2, s8
	s_delay_alu instid0(VALU_DEP_1) | instskip(NEXT) | instid1(VALU_DEP_1)
	v_dual_add_nc_u32 v4, 1, v2 :: v_dual_sub_nc_u32 v3, v0, v3
	v_subrev_nc_u32_e32 v5, s8, v3
	v_cmp_le_u32_e32 vcc_lo, s8, v3
	s_delay_alu instid0(VALU_DEP_2) | instskip(NEXT) | instid1(VALU_DEP_1)
	v_dual_cndmask_b32 v3, v3, v5 :: v_dual_cndmask_b32 v2, v2, v4
	v_cmp_le_u32_e32 vcc_lo, s8, v3
	s_delay_alu instid0(VALU_DEP_2) | instskip(NEXT) | instid1(VALU_DEP_1)
	v_dual_mov_b32 v3, 0 :: v_dual_add_nc_u32 v4, 1, v2
	v_cndmask_b32_e32 v2, v2, v4, vcc_lo
.LBB102_5:
	s_or_b32 exec_lo, exec_lo, s0
	s_delay_alu instid0(VALU_DEP_1) | instskip(SKIP_2) | instid1(VALU_DEP_2)
	v_mul_u64_e32 v[4:5], s[8:9], v[2:3]
                                        ; implicit-def: $vgpr8_vgpr9
	s_mov_b32 s0, exec_lo
	v_mov_b32_e32 v6, 0
	v_sub_nc_u64_e32 v[4:5], v[0:1], v[4:5]
	s_delay_alu instid0(VALU_DEP_1) | instskip(NEXT) | instid1(VALU_DEP_1)
	v_or_b32_e32 v7, s11, v5
	v_cmpx_ne_u64_e32 0, v[6:7]
	s_xor_b32 s1, exec_lo, s0
	s_cbranch_execz .LBB102_7
; %bb.6:
	s_cvt_f32_u32 s0, s10
	s_cvt_f32_u32 s2, s11
	s_sub_nc_u64 s[8:9], 0, s[10:11]
	s_mov_b32 s17, 0
	v_dual_mov_b32 v8, v4 :: v_dual_mov_b32 v9, v6
	s_fmamk_f32 s0, s2, 0x4f800000, s0
	v_dual_mov_b32 v10, v5 :: v_dual_mov_b32 v11, v6
	v_dual_mov_b32 v15, v6 :: v_dual_mov_b32 v7, v6
	s_delay_alu instid0(SALU_CYCLE_1) | instskip(NEXT) | instid1(TRANS32_DEP_1)
	v_s_rcp_f32 s0, s0
	s_mul_f32 s0, s0, 0x5f7ffffc
	s_delay_alu instid0(SALU_CYCLE_3) | instskip(NEXT) | instid1(SALU_CYCLE_3)
	s_mul_f32 s2, s0, 0x2f800000
	s_trunc_f32 s2, s2
	s_delay_alu instid0(SALU_CYCLE_3) | instskip(SKIP_1) | instid1(SALU_CYCLE_2)
	s_fmamk_f32 s0, s2, 0xcf800000, s0
	s_cvt_u32_f32 s3, s2
	s_cvt_u32_f32 s2, s0
	s_delay_alu instid0(SALU_CYCLE_3) | instskip(NEXT) | instid1(SALU_CYCLE_1)
	s_mul_u64 s[14:15], s[8:9], s[2:3]
	s_mul_hi_u32 s19, s2, s15
	s_mul_i32 s18, s2, s15
	s_mul_hi_u32 s16, s2, s14
	s_mul_i32 s20, s3, s14
	s_add_nc_u64 s[18:19], s[16:17], s[18:19]
	s_mul_hi_u32 s0, s3, s14
	s_mul_hi_u32 s21, s3, s15
	s_mul_i32 s14, s3, s15
	s_add_co_u32 s15, s18, s20
	s_add_co_ci_u32 s16, s19, s0
	s_add_co_ci_u32 s15, s21, 0
	s_delay_alu instid0(SALU_CYCLE_1) | instskip(NEXT) | instid1(SALU_CYCLE_1)
	s_add_nc_u64 s[14:15], s[16:17], s[14:15]
	s_add_co_u32 s2, s2, s14
	s_cselect_b32 s0, -1, 0
	s_delay_alu instid0(SALU_CYCLE_1) | instskip(SKIP_1) | instid1(SALU_CYCLE_1)
	s_cmp_lg_u32 s0, 0
	s_add_co_ci_u32 s3, s3, s15
	s_mul_u64 s[8:9], s[8:9], s[2:3]
	s_delay_alu instid0(SALU_CYCLE_1)
	s_mul_hi_u32 s15, s2, s9
	s_mul_i32 s14, s2, s9
	s_mul_hi_u32 s16, s2, s8
	s_mul_i32 s18, s3, s8
	s_add_nc_u64 s[14:15], s[16:17], s[14:15]
	s_mul_hi_u32 s0, s3, s8
	s_mul_hi_u32 s19, s3, s9
	s_mul_i32 s8, s3, s9
	s_add_co_u32 s9, s14, s18
	s_add_co_ci_u32 s16, s15, s0
	s_add_co_ci_u32 s9, s19, 0
	s_delay_alu instid0(SALU_CYCLE_1) | instskip(NEXT) | instid1(SALU_CYCLE_1)
	s_add_nc_u64 s[8:9], s[16:17], s[8:9]
	s_add_co_u32 s0, s2, s8
	s_cselect_b32 s2, -1, 0
	v_nop
	v_mul_hi_u32 v14, v4, s0
	s_cmp_lg_u32 s2, 0
	s_add_co_ci_u32 s16, s3, s9
	s_mov_b64 s[2:3], 0xffffffff
	v_mul_u64_e32 v[8:9], s[16:17], v[8:9]
	s_and_b64 s[2:3], s[0:1], s[2:3]
	s_delay_alu instid0(SALU_CYCLE_1) | instskip(SKIP_1) | instid1(VALU_DEP_3)
	v_mul_u64_e32 v[12:13], s[2:3], v[10:11]
	v_mul_u64_e32 v[10:11], s[16:17], v[10:11]
	v_add_nc_u64_e32 v[8:9], v[14:15], v[8:9]
	s_delay_alu instid0(VALU_DEP_1) | instskip(NEXT) | instid1(VALU_DEP_2)
	v_add_co_u32 v6, vcc_lo, v8, v12
	v_add_co_ci_u32_e32 v6, vcc_lo, v9, v13, vcc_lo
	s_delay_alu instid0(VALU_DEP_4) | instskip(NEXT) | instid1(VALU_DEP_1)
	v_add_co_ci_u32_e32 v11, vcc_lo, 0, v11, vcc_lo
	v_add_nc_u64_e32 v[6:7], v[6:7], v[10:11]
	s_delay_alu instid0(VALU_DEP_1) | instskip(NEXT) | instid1(VALU_DEP_1)
	v_mul_u64_e32 v[8:9], s[10:11], v[6:7]
	v_sub_nc_u32_e32 v10, v5, v9
	s_delay_alu instid0(VALU_DEP_2) | instskip(NEXT) | instid1(VALU_DEP_1)
	v_sub_co_u32 v8, vcc_lo, v4, v8
	v_sub_co_ci_u32_e64 v15, null, v5, v9, vcc_lo
	s_delay_alu instid0(VALU_DEP_3) | instskip(NEXT) | instid1(VALU_DEP_3)
	v_subrev_co_ci_u32_e64 v10, null, s11, v10, vcc_lo
	v_sub_co_u32 v12, s0, v8, s10
	v_cmp_le_u32_e32 vcc_lo, s10, v8
	s_delay_alu instid0(VALU_DEP_3) | instskip(NEXT) | instid1(VALU_DEP_3)
	v_subrev_co_ci_u32_e64 v13, null, 0, v10, s0
	v_cmp_le_u32_e64 s0, s10, v12
	v_add_nc_u64_e32 v[10:11], 2, v[6:7]
	v_cndmask_b32_e64 v16, 0, -1, vcc_lo
	s_delay_alu instid0(VALU_DEP_4) | instskip(SKIP_3) | instid1(VALU_DEP_1)
	v_cmp_eq_u32_e32 vcc_lo, s11, v13
	v_add_nc_u64_e32 v[8:9], 1, v[6:7]
	v_cndmask_b32_e64 v12, 0, -1, s0
	v_cmp_le_u32_e64 s0, s11, v13
	v_cndmask_b32_e64 v14, 0, -1, s0
	v_cmp_eq_u32_e64 s0, s11, v15
	s_delay_alu instid0(VALU_DEP_2) | instskip(SKIP_2) | instid1(VALU_DEP_3)
	v_cndmask_b32_e32 v12, v14, v12, vcc_lo
	v_cmp_le_u32_e32 vcc_lo, s11, v15
	v_cndmask_b32_e64 v13, 0, -1, vcc_lo
	v_cmp_ne_u32_e32 vcc_lo, 0, v12
	s_delay_alu instid0(VALU_DEP_2) | instskip(SKIP_1) | instid1(VALU_DEP_2)
	v_dual_cndmask_b32 v12, v13, v16, s0 :: v_dual_cndmask_b32 v8, v8, v10, vcc_lo
	v_cndmask_b32_e32 v9, v9, v11, vcc_lo
	v_cmp_ne_u32_e32 vcc_lo, 0, v12
	s_delay_alu instid0(VALU_DEP_2)
	v_dual_cndmask_b32 v8, v6, v8 :: v_dual_cndmask_b32 v9, v7, v9
.LBB102_7:
	s_and_not1_saveexec_b32 s0, s1
	s_cbranch_execz .LBB102_9
; %bb.8:
	v_cvt_f32_u32_e32 v6, s10
	s_sub_co_i32 s1, 0, s10
	s_delay_alu instid0(VALU_DEP_1) | instskip(SKIP_1) | instid1(TRANS32_DEP_1)
	v_rcp_iflag_f32_e32 v6, v6
	v_nop
	v_mul_f32_e32 v6, 0x4f7ffffe, v6
	s_delay_alu instid0(VALU_DEP_1) | instskip(NEXT) | instid1(VALU_DEP_1)
	v_cvt_u32_f32_e32 v6, v6
	v_mul_lo_u32 v7, s1, v6
	s_delay_alu instid0(VALU_DEP_1) | instskip(NEXT) | instid1(VALU_DEP_1)
	v_mul_hi_u32 v7, v6, v7
	v_add_nc_u32_e32 v6, v6, v7
	s_delay_alu instid0(VALU_DEP_1) | instskip(NEXT) | instid1(VALU_DEP_1)
	v_mul_hi_u32 v6, v4, v6
	v_mul_lo_u32 v7, v6, s10
	s_delay_alu instid0(VALU_DEP_1) | instskip(NEXT) | instid1(VALU_DEP_1)
	v_dual_add_nc_u32 v8, 1, v6 :: v_dual_sub_nc_u32 v7, v4, v7
	v_subrev_nc_u32_e32 v9, s10, v7
	v_cmp_le_u32_e32 vcc_lo, s10, v7
	s_delay_alu instid0(VALU_DEP_2) | instskip(NEXT) | instid1(VALU_DEP_4)
	v_dual_cndmask_b32 v7, v7, v9, vcc_lo :: v_dual_mov_b32 v9, 0
	v_cndmask_b32_e32 v6, v6, v8, vcc_lo
	s_delay_alu instid0(VALU_DEP_2) | instskip(NEXT) | instid1(VALU_DEP_2)
	v_cmp_le_u32_e32 vcc_lo, s10, v7
	v_add_nc_u32_e32 v8, 1, v6
	s_delay_alu instid0(VALU_DEP_1)
	v_cndmask_b32_e32 v8, v6, v8, vcc_lo
.LBB102_9:
	s_or_b32 exec_lo, exec_lo, s0
	s_delay_alu instid0(VALU_DEP_1) | instskip(SKIP_1) | instid1(VALU_DEP_1)
	v_mul_u64_e32 v[6:7], s[10:11], v[8:9]
	v_mad_nc_u64_u32 v[8:9], v2, s6, v[8:9]
	v_mad_u32 v3, v3, s6, v9
	s_delay_alu instid0(VALU_DEP_1) | instskip(NEXT) | instid1(VALU_DEP_4)
	v_mad_u32 v2, v2, s7, v3
	v_sub_nc_u64_e32 v[4:5], v[4:5], v[6:7]
	s_delay_alu instid0(VALU_DEP_1) | instskip(NEXT) | instid1(VALU_DEP_1)
	v_mad_nc_u64_u32 v[4:5], v8, s4, v[4:5]
	v_mad_u32 v2, v2, s4, v5
	s_delay_alu instid0(VALU_DEP_2) | instskip(NEXT) | instid1(VALU_DEP_2)
	v_cvt_f64_u32_e32 v[6:7], v4
	v_mad_u32 v5, v8, s5, v2
                                        ; implicit-def: $vgpr8
	s_delay_alu instid0(VALU_DEP_1) | instskip(SKIP_1) | instid1(VALU_DEP_2)
	v_cvt_f64_u32_e32 v[2:3], v5
	v_cmp_lt_u64_e32 vcc_lo, 0x3fffffff, v[4:5]
                                        ; implicit-def: $vgpr4_vgpr5
	v_ldexp_f64 v[2:3], v[2:3], 32
	s_delay_alu instid0(VALU_DEP_1) | instskip(SKIP_1) | instid1(SALU_CYCLE_1)
	v_add_f64_e32 v[2:3], v[2:3], v[6:7]
                                        ; implicit-def: $vgpr6_vgpr7
	s_and_saveexec_b32 s0, vcc_lo
	s_xor_b32 s0, exec_lo, s0
	s_cbranch_execz .LBB102_11
; %bb.10:
	s_delay_alu instid0(VALU_DEP_1) | instskip(SKIP_3) | instid1(VALU_DEP_3)
	v_trig_preop_f64 v[4:5], v[2:3], 0
	v_trig_preop_f64 v[6:7], v[2:3], 1
	;; [unrolled: 1-line block ×3, first 2 shown]
	s_mov_b64 s[2:3], 0x3ff921fb54442d18
	v_dual_mul_f64 v[8:9], v[4:5], v[2:3] :: v_dual_mov_b32 v24, 0
	s_delay_alu instid0(VALU_DEP_3) | instskip(NEXT) | instid1(VALU_DEP_3)
	v_mul_f64_e32 v[10:11], v[6:7], v[2:3]
	v_mul_f64_e32 v[22:23], v[16:17], v[2:3]
	s_delay_alu instid0(VALU_DEP_3) | instskip(NEXT) | instid1(VALU_DEP_3)
	v_fma_f64 v[4:5], v[4:5], v[2:3], -v[8:9]
	v_fma_f64 v[6:7], v[6:7], v[2:3], -v[10:11]
	s_delay_alu instid0(VALU_DEP_3) | instskip(NEXT) | instid1(VALU_DEP_3)
	v_fma_f64 v[16:17], v[16:17], v[2:3], -v[22:23]
	v_add_f64_e32 v[12:13], v[10:11], v[4:5]
	s_delay_alu instid0(VALU_DEP_1) | instskip(SKIP_1) | instid1(VALU_DEP_2)
	v_add_f64_e64 v[14:15], v[12:13], -v[10:11]
	v_add_f64_e32 v[20:21], v[8:9], v[12:13]
	v_add_f64_e64 v[18:19], v[12:13], -v[14:15]
	v_add_f64_e64 v[4:5], v[4:5], -v[14:15]
	s_delay_alu instid0(VALU_DEP_3) | instskip(NEXT) | instid1(VALU_DEP_3)
	v_ldexp_f64 v[14:15], v[20:21], -2
	v_add_f64_e64 v[10:11], v[10:11], -v[18:19]
	v_add_f64_e32 v[18:19], v[22:23], v[6:7]
	s_delay_alu instid0(VALU_DEP_3) | instskip(NEXT) | instid1(VALU_DEP_3)
	v_cmp_neq_f64_e64 vcc_lo, 0x7ff00000, |v[14:15]|
	v_add_f64_e32 v[4:5], v[4:5], v[10:11]
	v_fract_f64_e32 v[10:11], v[14:15]
	s_delay_alu instid0(VALU_DEP_1) | instskip(NEXT) | instid1(VALU_DEP_1)
	v_ldexp_f64 v[10:11], v[10:11], 2
	v_dual_add_f64 v[8:9], v[20:21], -v[8:9] :: v_dual_cndmask_b32 v10, 0, v10, vcc_lo
	s_delay_alu instid0(VALU_DEP_1) | instskip(SKIP_1) | instid1(VALU_DEP_1)
	v_dual_add_f64 v[8:9], v[12:13], -v[8:9] :: v_dual_cndmask_b32 v11, 0, v11, vcc_lo
	v_add_f64_e32 v[12:13], v[18:19], v[4:5]
	v_add_f64_e32 v[14:15], v[8:9], v[12:13]
	v_add_f64_e64 v[26:27], v[12:13], -v[18:19]
	s_delay_alu instid0(VALU_DEP_2) | instskip(NEXT) | instid1(VALU_DEP_2)
	v_add_f64_e32 v[20:21], v[14:15], v[10:11]
	v_add_f64_e64 v[32:33], v[12:13], -v[26:27]
	v_add_f64_e64 v[4:5], v[4:5], -v[26:27]
	;; [unrolled: 1-line block ×3, first 2 shown]
	s_delay_alu instid0(VALU_DEP_4) | instskip(SKIP_1) | instid1(VALU_DEP_3)
	v_cmp_gt_f64_e32 vcc_lo, 0, v[20:21]
	v_add_f64_e64 v[20:21], v[18:19], -v[22:23]
	v_add_f64_e64 v[8:9], v[12:13], -v[8:9]
	v_cndmask_b32_e64 v25, 0, 0x40100000, vcc_lo
	s_delay_alu instid0(VALU_DEP_3) | instskip(SKIP_2) | instid1(VALU_DEP_4)
	v_add_f64_e64 v[30:31], v[18:19], -v[20:21]
	v_add_f64_e64 v[6:7], v[6:7], -v[20:21]
	;; [unrolled: 1-line block ×3, first 2 shown]
	v_add_f64_e32 v[10:11], v[10:11], v[24:25]
	s_delay_alu instid0(VALU_DEP_4) | instskip(NEXT) | instid1(VALU_DEP_3)
	v_add_f64_e64 v[20:21], v[22:23], -v[30:31]
	v_add_f64_e32 v[4:5], v[4:5], v[18:19]
	s_delay_alu instid0(VALU_DEP_3) | instskip(NEXT) | instid1(VALU_DEP_3)
	v_add_f64_e32 v[28:29], v[14:15], v[10:11]
	v_add_f64_e32 v[6:7], v[6:7], v[20:21]
	s_delay_alu instid0(VALU_DEP_2) | instskip(NEXT) | instid1(VALU_DEP_2)
	v_cvt_i32_f64_e32 v25, v[28:29]
	v_add_f64_e32 v[4:5], v[6:7], v[4:5]
	s_delay_alu instid0(VALU_DEP_2) | instskip(NEXT) | instid1(VALU_DEP_2)
	v_cvt_f64_i32_e32 v[26:27], v25
	v_add_f64_e32 v[4:5], v[16:17], v[4:5]
	s_delay_alu instid0(VALU_DEP_2) | instskip(NEXT) | instid1(VALU_DEP_2)
	v_add_f64_e64 v[10:11], v[10:11], -v[26:27]
	v_add_f64_e32 v[4:5], v[8:9], v[4:5]
	s_delay_alu instid0(VALU_DEP_2) | instskip(NEXT) | instid1(VALU_DEP_1)
	v_add_f64_e32 v[6:7], v[14:15], v[10:11]
	v_add_f64_e64 v[10:11], v[6:7], -v[10:11]
	v_cmp_le_f64_e32 vcc_lo, 0.5, v[6:7]
	s_delay_alu instid0(VALU_DEP_2) | instskip(SKIP_2) | instid1(VALU_DEP_1)
	v_add_f64_e64 v[10:11], v[14:15], -v[10:11]
	v_add_co_ci_u32_e64 v8, null, 0, v25, vcc_lo
	v_cndmask_b32_e64 v25, 0, 0x3ff00000, vcc_lo
	v_add_f64_e64 v[6:7], v[6:7], -v[24:25]
	s_delay_alu instid0(VALU_DEP_4) | instskip(NEXT) | instid1(VALU_DEP_1)
	v_add_f64_e32 v[4:5], v[4:5], v[10:11]
	v_add_f64_e32 v[10:11], v[6:7], v[4:5]
	s_delay_alu instid0(VALU_DEP_1) | instskip(SKIP_1) | instid1(VALU_DEP_2)
	v_mul_f64_e32 v[12:13], 0x3ff921fb54442d18, v[10:11]
	v_add_f64_e64 v[6:7], v[10:11], -v[6:7]
	v_fma_f64 v[14:15], v[10:11], s[2:3], -v[12:13]
	s_delay_alu instid0(VALU_DEP_2) | instskip(NEXT) | instid1(VALU_DEP_2)
	v_add_f64_e64 v[4:5], v[4:5], -v[6:7]
	v_fmamk_f64 v[6:7], v[10:11], 0x3c91a62633145c07, v[14:15]
	s_delay_alu instid0(VALU_DEP_1) | instskip(NEXT) | instid1(VALU_DEP_1)
	v_fmac_f64_e32 v[6:7], 0x3ff921fb54442d18, v[4:5]
	v_add_f64_e32 v[4:5], v[12:13], v[6:7]
	s_delay_alu instid0(VALU_DEP_1) | instskip(NEXT) | instid1(VALU_DEP_1)
	v_add_f64_e64 v[10:11], v[4:5], -v[12:13]
	v_add_f64_e64 v[6:7], v[6:7], -v[10:11]
.LBB102_11:
	s_and_not1_saveexec_b32 s0, s0
	s_cbranch_execz .LBB102_13
; %bb.12:
	s_delay_alu instid0(VALU_DEP_1) | instskip(NEXT) | instid1(VALU_DEP_1)
	v_mul_f64_e32 v[4:5], 0x3fe45f306dc9c883, v[2:3]
	v_rndne_f64_e32 v[8:9], v[4:5]
	s_delay_alu instid0(VALU_DEP_1) | instskip(SKIP_1) | instid1(VALU_DEP_1)
	v_mul_f64_e32 v[4:5], 0xbc91a62633145c00, v[8:9]
	v_fmamk_f64 v[6:7], v[8:9], 0xbff921fb54442d18, v[2:3]
	v_add_f64_e32 v[10:11], v[6:7], v[4:5]
	s_delay_alu instid0(VALU_DEP_1) | instskip(SKIP_1) | instid1(VALU_DEP_1)
	v_add_f64_e64 v[12:13], v[6:7], -v[10:11]
	v_fmamk_f64 v[6:7], v[8:9], 0xbc91a62633145c00, v[6:7]
	v_add_f64_e64 v[10:11], v[10:11], -v[6:7]
	s_delay_alu instid0(VALU_DEP_3) | instskip(SKIP_1) | instid1(VALU_DEP_2)
	v_add_f64_e32 v[12:13], v[12:13], v[4:5]
	v_fmamk_f64 v[4:5], v[8:9], 0x3c91a62633145c00, v[4:5]
	v_add_f64_e32 v[10:11], v[10:11], v[12:13]
	s_delay_alu instid0(VALU_DEP_1) | instskip(NEXT) | instid1(VALU_DEP_1)
	v_add_f64_e64 v[4:5], v[10:11], -v[4:5]
	v_fmamk_f64 v[10:11], v[8:9], 0xb97b839a252049c0, v[4:5]
	v_cvt_i32_f64_e32 v8, v[8:9]
	s_delay_alu instid0(VALU_DEP_2) | instskip(NEXT) | instid1(VALU_DEP_1)
	v_add_f64_e32 v[4:5], v[6:7], v[10:11]
	v_add_f64_e64 v[6:7], v[4:5], -v[6:7]
	s_delay_alu instid0(VALU_DEP_1)
	v_add_f64_e64 v[6:7], v[10:11], -v[6:7]
.LBB102_13:
	s_or_b32 exec_lo, exec_lo, s0
	v_mul_f64_e32 v[10:11], v[4:5], v[4:5]
	s_delay_alu instid0(VALU_DEP_2) | instskip(SKIP_3) | instid1(VALU_DEP_1)
	v_mul_f64_e32 v[18:19], 0.5, v[6:7]
	s_mov_b64 s[0:1], 0x3de5e0b2f9a43bb8
	v_add_nc_u64_e32 v[0:1], s[12:13], v[0:1]
	v_dual_lshlrev_b32 v8, 30, v8 :: v_dual_bitop2_b32 v2, 1, v8 bitop3:0x40
	v_cmp_eq_u32_e32 vcc_lo, 0, v2
	s_delay_alu instid0(VALU_DEP_2) | instskip(SKIP_4) | instid1(VALU_DEP_3)
	v_xor_b32_e32 v3, v8, v3
	v_mul_f64_e32 v[12:13], 0.5, v[10:11]
	v_mul_f64_e64 v[20:21], v[4:5], -v[10:11]
	v_fmaak_f64 v[22:23], s[0:1], v[10:11], 0xbe5ae600b42fdfa7
	s_mov_b64 s[0:1], 0xbda907db46cc5e42
	v_add_f64_e64 v[14:15], -v[12:13], 1.0
	s_delay_alu instid0(VALU_DEP_1) | instskip(NEXT) | instid1(VALU_DEP_1)
	v_add_f64_e64 v[16:17], -v[14:15], 1.0
	v_add_f64_e64 v[12:13], v[16:17], -v[12:13]
	s_delay_alu instid0(VALU_DEP_4) | instskip(SKIP_1) | instid1(VALU_DEP_2)
	v_fmaak_f64 v[16:17], v[10:11], v[22:23], 0x3ec71de3796cde01
	v_mul_f64_e32 v[22:23], v[10:11], v[10:11]
	v_fmaak_f64 v[16:17], v[10:11], v[16:17], 0xbf2a01a019e83e5c
	s_delay_alu instid0(VALU_DEP_1) | instskip(NEXT) | instid1(VALU_DEP_1)
	v_fmaak_f64 v[16:17], v[10:11], v[16:17], 0x3f81111111110bb3
	v_fmac_f64_e32 v[18:19], v[20:21], v[16:17]
	v_fmaak_f64 v[16:17], s[0:1], v[10:11], 0x3e21eeb69037ab78
	s_delay_alu instid0(VALU_DEP_1) | instskip(SKIP_1) | instid1(VALU_DEP_2)
	v_fmaak_f64 v[16:17], v[10:11], v[16:17], 0xbe927e4fa17f65f6
	v_fma_f64 v[12:13], v[4:5], -v[6:7], v[12:13]
	v_fmaak_f64 v[16:17], v[10:11], v[16:17], 0x3efa01a019f4ec90
	s_delay_alu instid0(VALU_DEP_1) | instskip(SKIP_1) | instid1(VALU_DEP_2)
	v_fmaak_f64 v[16:17], v[10:11], v[16:17], 0xbf56c16c16c16967
	v_fma_f64 v[6:7], v[10:11], v[18:19], -v[6:7]
	v_fmaak_f64 v[10:11], v[10:11], v[16:17], 0x3fa5555555555555
	s_delay_alu instid0(VALU_DEP_1) | instskip(NEXT) | instid1(VALU_DEP_3)
	v_fmac_f64_e32 v[12:13], v[22:23], v[10:11]
	v_fmamk_f64 v[6:7], v[20:21], 0xbfc5555555555555, v[6:7]
	s_delay_alu instid0(VALU_DEP_1) | instskip(NEXT) | instid1(VALU_DEP_3)
	v_add_f64_e64 v[4:5], v[4:5], -v[6:7]
	v_add_f64_e32 v[6:7], v[14:15], v[12:13]
	s_delay_alu instid0(VALU_DEP_1) | instskip(NEXT) | instid1(VALU_DEP_1)
	v_dual_cndmask_b32 v2, v6, v4, vcc_lo :: v_dual_cndmask_b32 v4, v7, v5, vcc_lo
	v_bitop3_b32 v3, v4, v3, 0x80000000 bitop3:0x78
	s_delay_alu instid0(VALU_DEP_1)
	v_cvt_i32_f64_e32 v2, v[2:3]
	global_store_b8 v[0:1], v2, off
.LBB102_14:
	s_endpgm
	.section	.rodata,"a",@progbits
	.p2align	6, 0x0
	.amdhsa_kernel _Z11fill_kernelIaZ21hipblaslt_init_deviceIaEv8ABC_dims24hipblaslt_initializationbPT_mmmmmEUlmE2_EvS4_mmT0_
		.amdhsa_group_segment_fixed_size 0
		.amdhsa_private_segment_fixed_size 0
		.amdhsa_kernarg_size 312
		.amdhsa_user_sgpr_count 2
		.amdhsa_user_sgpr_dispatch_ptr 0
		.amdhsa_user_sgpr_queue_ptr 0
		.amdhsa_user_sgpr_kernarg_segment_ptr 1
		.amdhsa_user_sgpr_dispatch_id 0
		.amdhsa_user_sgpr_kernarg_preload_length 0
		.amdhsa_user_sgpr_kernarg_preload_offset 0
		.amdhsa_user_sgpr_private_segment_size 0
		.amdhsa_wavefront_size32 1
		.amdhsa_uses_dynamic_stack 0
		.amdhsa_enable_private_segment 0
		.amdhsa_system_sgpr_workgroup_id_x 1
		.amdhsa_system_sgpr_workgroup_id_y 0
		.amdhsa_system_sgpr_workgroup_id_z 0
		.amdhsa_system_sgpr_workgroup_info 0
		.amdhsa_system_vgpr_workitem_id 0
		.amdhsa_next_free_vgpr 34
		.amdhsa_next_free_sgpr 24
		.amdhsa_named_barrier_count 0
		.amdhsa_reserve_vcc 1
		.amdhsa_float_round_mode_32 0
		.amdhsa_float_round_mode_16_64 0
		.amdhsa_float_denorm_mode_32 3
		.amdhsa_float_denorm_mode_16_64 3
		.amdhsa_fp16_overflow 0
		.amdhsa_memory_ordered 1
		.amdhsa_forward_progress 1
		.amdhsa_inst_pref_size 22
		.amdhsa_round_robin_scheduling 0
		.amdhsa_exception_fp_ieee_invalid_op 0
		.amdhsa_exception_fp_denorm_src 0
		.amdhsa_exception_fp_ieee_div_zero 0
		.amdhsa_exception_fp_ieee_overflow 0
		.amdhsa_exception_fp_ieee_underflow 0
		.amdhsa_exception_fp_ieee_inexact 0
		.amdhsa_exception_int_div_zero 0
	.end_amdhsa_kernel
	.section	.text._Z11fill_kernelIaZ21hipblaslt_init_deviceIaEv8ABC_dims24hipblaslt_initializationbPT_mmmmmEUlmE2_EvS4_mmT0_,"axG",@progbits,_Z11fill_kernelIaZ21hipblaslt_init_deviceIaEv8ABC_dims24hipblaslt_initializationbPT_mmmmmEUlmE2_EvS4_mmT0_,comdat
.Lfunc_end102:
	.size	_Z11fill_kernelIaZ21hipblaslt_init_deviceIaEv8ABC_dims24hipblaslt_initializationbPT_mmmmmEUlmE2_EvS4_mmT0_, .Lfunc_end102-_Z11fill_kernelIaZ21hipblaslt_init_deviceIaEv8ABC_dims24hipblaslt_initializationbPT_mmmmmEUlmE2_EvS4_mmT0_
                                        ; -- End function
	.set _Z11fill_kernelIaZ21hipblaslt_init_deviceIaEv8ABC_dims24hipblaslt_initializationbPT_mmmmmEUlmE2_EvS4_mmT0_.num_vgpr, 34
	.set _Z11fill_kernelIaZ21hipblaslt_init_deviceIaEv8ABC_dims24hipblaslt_initializationbPT_mmmmmEUlmE2_EvS4_mmT0_.num_agpr, 0
	.set _Z11fill_kernelIaZ21hipblaslt_init_deviceIaEv8ABC_dims24hipblaslt_initializationbPT_mmmmmEUlmE2_EvS4_mmT0_.numbered_sgpr, 24
	.set _Z11fill_kernelIaZ21hipblaslt_init_deviceIaEv8ABC_dims24hipblaslt_initializationbPT_mmmmmEUlmE2_EvS4_mmT0_.num_named_barrier, 0
	.set _Z11fill_kernelIaZ21hipblaslt_init_deviceIaEv8ABC_dims24hipblaslt_initializationbPT_mmmmmEUlmE2_EvS4_mmT0_.private_seg_size, 0
	.set _Z11fill_kernelIaZ21hipblaslt_init_deviceIaEv8ABC_dims24hipblaslt_initializationbPT_mmmmmEUlmE2_EvS4_mmT0_.uses_vcc, 1
	.set _Z11fill_kernelIaZ21hipblaslt_init_deviceIaEv8ABC_dims24hipblaslt_initializationbPT_mmmmmEUlmE2_EvS4_mmT0_.uses_flat_scratch, 0
	.set _Z11fill_kernelIaZ21hipblaslt_init_deviceIaEv8ABC_dims24hipblaslt_initializationbPT_mmmmmEUlmE2_EvS4_mmT0_.has_dyn_sized_stack, 0
	.set _Z11fill_kernelIaZ21hipblaslt_init_deviceIaEv8ABC_dims24hipblaslt_initializationbPT_mmmmmEUlmE2_EvS4_mmT0_.has_recursion, 0
	.set _Z11fill_kernelIaZ21hipblaslt_init_deviceIaEv8ABC_dims24hipblaslt_initializationbPT_mmmmmEUlmE2_EvS4_mmT0_.has_indirect_call, 0
	.section	.AMDGPU.csdata,"",@progbits
; Kernel info:
; codeLenInByte = 2752
; TotalNumSgprs: 26
; NumVgprs: 34
; ScratchSize: 0
; MemoryBound: 0
; FloatMode: 240
; IeeeMode: 1
; LDSByteSize: 0 bytes/workgroup (compile time only)
; SGPRBlocks: 0
; VGPRBlocks: 2
; NumSGPRsForWavesPerEU: 26
; NumVGPRsForWavesPerEU: 34
; NamedBarCnt: 0
; Occupancy: 16
; WaveLimiterHint : 0
; COMPUTE_PGM_RSRC2:SCRATCH_EN: 0
; COMPUTE_PGM_RSRC2:USER_SGPR: 2
; COMPUTE_PGM_RSRC2:TRAP_HANDLER: 0
; COMPUTE_PGM_RSRC2:TGID_X_EN: 1
; COMPUTE_PGM_RSRC2:TGID_Y_EN: 0
; COMPUTE_PGM_RSRC2:TGID_Z_EN: 0
; COMPUTE_PGM_RSRC2:TIDIG_COMP_CNT: 0
	.section	.text._Z11fill_kernelIaZ21hipblaslt_init_deviceIaEv8ABC_dims24hipblaslt_initializationbPT_mmmmmEUlmE3_EvS4_mmT0_,"axG",@progbits,_Z11fill_kernelIaZ21hipblaslt_init_deviceIaEv8ABC_dims24hipblaslt_initializationbPT_mmmmmEUlmE3_EvS4_mmT0_,comdat
	.protected	_Z11fill_kernelIaZ21hipblaslt_init_deviceIaEv8ABC_dims24hipblaslt_initializationbPT_mmmmmEUlmE3_EvS4_mmT0_ ; -- Begin function _Z11fill_kernelIaZ21hipblaslt_init_deviceIaEv8ABC_dims24hipblaslt_initializationbPT_mmmmmEUlmE3_EvS4_mmT0_
	.globl	_Z11fill_kernelIaZ21hipblaslt_init_deviceIaEv8ABC_dims24hipblaslt_initializationbPT_mmmmmEUlmE3_EvS4_mmT0_
	.p2align	8
	.type	_Z11fill_kernelIaZ21hipblaslt_init_deviceIaEv8ABC_dims24hipblaslt_initializationbPT_mmmmmEUlmE3_EvS4_mmT0_,@function
_Z11fill_kernelIaZ21hipblaslt_init_deviceIaEv8ABC_dims24hipblaslt_initializationbPT_mmmmmEUlmE3_EvS4_mmT0_: ; @_Z11fill_kernelIaZ21hipblaslt_init_deviceIaEv8ABC_dims24hipblaslt_initializationbPT_mmmmmEUlmE3_EvS4_mmT0_
; %bb.0:
	s_clause 0x1
	s_load_b32 s2, s[0:1], 0x44
	s_load_b128 s[12:15], s[0:1], 0x0
	s_bfe_u32 s3, ttmp6, 0x4000c
	s_and_b32 s4, ttmp6, 15
	s_add_co_i32 s3, s3, 1
	s_getreg_b32 s5, hwreg(HW_REG_IB_STS2, 6, 4)
	s_mul_i32 s3, ttmp9, s3
	v_mov_b32_e32 v3, 0
	s_add_co_i32 s4, s4, s3
	s_wait_kmcnt 0x0
	s_and_b32 s2, s2, 0xffff
	s_cmp_eq_u32 s5, 0
	s_cselect_b32 s3, ttmp9, s4
	s_delay_alu instid0(SALU_CYCLE_1) | instskip(SKIP_1) | instid1(VALU_DEP_1)
	v_mad_u32 v2, s3, s2, v0
	s_mov_b32 s2, exec_lo
	v_cmpx_gt_u64_e64 s[14:15], v[2:3]
	s_cbranch_execz .LBB103_14
; %bb.1:
	s_clause 0x1
	s_load_b64 s[2:3], s[0:1], 0x10
	s_load_b256 s[4:11], s[0:1], 0x18
	s_wait_xcnt 0x0
	s_mov_b32 s0, exec_lo
	v_mov_b32_e32 v4, v3
	s_wait_kmcnt 0x0
	v_add_nc_u64_e32 v[0:1], s[2:3], v[2:3]
                                        ; implicit-def: $vgpr2_vgpr3
	s_delay_alu instid0(VALU_DEP_1) | instskip(NEXT) | instid1(VALU_DEP_1)
	v_or_b32_e32 v5, s9, v1
	v_cmpx_ne_u64_e32 0, v[4:5]
	s_xor_b32 s1, exec_lo, s0
	s_cbranch_execz .LBB103_3
; %bb.2:
	s_cvt_f32_u32 s0, s8
	s_cvt_f32_u32 s2, s9
	s_sub_nc_u64 s[14:15], 0, s[8:9]
	s_mov_b32 s19, 0
	v_dual_mov_b32 v3, 0 :: v_dual_mov_b32 v2, v0
	s_fmamk_f32 s0, s2, 0x4f800000, s0
	s_delay_alu instid0(SALU_CYCLE_3) | instskip(NEXT) | instid1(TRANS32_DEP_1)
	v_s_rcp_f32 s0, s0
	s_mul_f32 s0, s0, 0x5f7ffffc
	s_delay_alu instid0(SALU_CYCLE_3) | instskip(NEXT) | instid1(SALU_CYCLE_3)
	s_mul_f32 s2, s0, 0x2f800000
	s_trunc_f32 s2, s2
	s_delay_alu instid0(SALU_CYCLE_3) | instskip(SKIP_1) | instid1(SALU_CYCLE_2)
	s_fmamk_f32 s0, s2, 0xcf800000, s0
	s_cvt_u32_f32 s3, s2
	s_cvt_u32_f32 s2, s0
	s_delay_alu instid0(SALU_CYCLE_3) | instskip(NEXT) | instid1(SALU_CYCLE_1)
	s_mul_u64 s[16:17], s[14:15], s[2:3]
	s_mul_hi_u32 s21, s2, s17
	s_mul_i32 s20, s2, s17
	s_mul_hi_u32 s18, s2, s16
	s_mul_i32 s22, s3, s16
	s_add_nc_u64 s[20:21], s[18:19], s[20:21]
	s_mul_hi_u32 s0, s3, s16
	s_mul_hi_u32 s23, s3, s17
	s_mul_i32 s16, s3, s17
	s_add_co_u32 s17, s20, s22
	s_add_co_ci_u32 s18, s21, s0
	s_add_co_ci_u32 s17, s23, 0
	s_delay_alu instid0(SALU_CYCLE_1) | instskip(NEXT) | instid1(SALU_CYCLE_1)
	s_add_nc_u64 s[16:17], s[18:19], s[16:17]
	s_add_co_u32 s2, s2, s16
	s_cselect_b32 s0, -1, 0
	s_delay_alu instid0(SALU_CYCLE_1) | instskip(SKIP_1) | instid1(SALU_CYCLE_1)
	s_cmp_lg_u32 s0, 0
	s_add_co_ci_u32 s3, s3, s17
	s_mul_u64 s[14:15], s[14:15], s[2:3]
	s_delay_alu instid0(SALU_CYCLE_1)
	s_mul_hi_u32 s17, s2, s15
	s_mul_i32 s16, s2, s15
	s_mul_hi_u32 s18, s2, s14
	s_mul_i32 s20, s3, s14
	s_add_nc_u64 s[16:17], s[18:19], s[16:17]
	s_mul_hi_u32 s0, s3, s14
	s_mul_hi_u32 s21, s3, s15
	s_mul_i32 s14, s3, s15
	s_add_co_u32 s15, s16, s20
	s_add_co_ci_u32 s18, s17, s0
	s_add_co_ci_u32 s15, s21, 0
	s_delay_alu instid0(SALU_CYCLE_1) | instskip(NEXT) | instid1(SALU_CYCLE_1)
	s_add_nc_u64 s[14:15], s[18:19], s[14:15]
	s_add_co_u32 s0, s2, s14
	s_cselect_b32 s2, -1, 0
	s_delay_alu instid0(SALU_CYCLE_1)
	s_cmp_lg_u32 s2, 0
	s_add_co_ci_u32 s18, s3, s15
	s_mov_b64 s[2:3], 0xffffffff
	v_mul_u64_e32 v[4:5], s[18:19], v[2:3]
	v_mul_hi_u32 v2, v0, s0
	s_and_b64 s[2:3], s[0:1], s[2:3]
	s_delay_alu instid0(VALU_DEP_1) | instskip(SKIP_1) | instid1(VALU_DEP_1)
	v_add_nc_u64_e32 v[4:5], v[2:3], v[4:5]
	v_mov_b32_e32 v2, v1
	v_mul_u64_e32 v[6:7], s[2:3], v[2:3]
	v_mul_u64_e32 v[8:9], s[18:19], v[2:3]
	s_delay_alu instid0(VALU_DEP_2) | instskip(NEXT) | instid1(VALU_DEP_3)
	v_add_co_u32 v2, vcc_lo, v4, v6
	v_add_co_ci_u32_e32 v2, vcc_lo, v5, v7, vcc_lo
	s_delay_alu instid0(VALU_DEP_3) | instskip(NEXT) | instid1(VALU_DEP_1)
	v_add_co_ci_u32_e32 v9, vcc_lo, 0, v9, vcc_lo
	v_add_nc_u64_e32 v[2:3], v[2:3], v[8:9]
	s_delay_alu instid0(VALU_DEP_1) | instskip(NEXT) | instid1(VALU_DEP_1)
	v_mul_u64_e32 v[4:5], s[8:9], v[2:3]
	v_sub_nc_u32_e32 v6, v1, v5
	s_delay_alu instid0(VALU_DEP_2) | instskip(NEXT) | instid1(VALU_DEP_1)
	v_sub_co_u32 v4, vcc_lo, v0, v4
	v_sub_co_ci_u32_e64 v11, null, v1, v5, vcc_lo
	s_delay_alu instid0(VALU_DEP_3) | instskip(NEXT) | instid1(VALU_DEP_3)
	v_subrev_co_ci_u32_e64 v6, null, s9, v6, vcc_lo
	v_sub_co_u32 v8, s0, v4, s8
	v_cmp_le_u32_e32 vcc_lo, s8, v4
	s_delay_alu instid0(VALU_DEP_3) | instskip(NEXT) | instid1(VALU_DEP_3)
	v_subrev_co_ci_u32_e64 v9, null, 0, v6, s0
	v_cmp_le_u32_e64 s0, s8, v8
	v_add_nc_u64_e32 v[6:7], 2, v[2:3]
	v_cndmask_b32_e64 v12, 0, -1, vcc_lo
	s_delay_alu instid0(VALU_DEP_4) | instskip(SKIP_3) | instid1(VALU_DEP_1)
	v_cmp_eq_u32_e32 vcc_lo, s9, v9
	v_add_nc_u64_e32 v[4:5], 1, v[2:3]
	v_cndmask_b32_e64 v8, 0, -1, s0
	v_cmp_le_u32_e64 s0, s9, v9
	v_cndmask_b32_e64 v10, 0, -1, s0
	v_cmp_eq_u32_e64 s0, s9, v11
	s_delay_alu instid0(VALU_DEP_2) | instskip(SKIP_2) | instid1(VALU_DEP_3)
	v_cndmask_b32_e32 v8, v10, v8, vcc_lo
	v_cmp_le_u32_e32 vcc_lo, s9, v11
	v_cndmask_b32_e64 v9, 0, -1, vcc_lo
	v_cmp_ne_u32_e32 vcc_lo, 0, v8
	s_delay_alu instid0(VALU_DEP_2) | instskip(SKIP_1) | instid1(VALU_DEP_2)
	v_dual_cndmask_b32 v8, v9, v12, s0 :: v_dual_cndmask_b32 v4, v4, v6, vcc_lo
	v_cndmask_b32_e32 v5, v5, v7, vcc_lo
	v_cmp_ne_u32_e32 vcc_lo, 0, v8
	s_delay_alu instid0(VALU_DEP_2)
	v_dual_cndmask_b32 v3, v3, v5 :: v_dual_cndmask_b32 v2, v2, v4
.LBB103_3:
	s_and_not1_saveexec_b32 s0, s1
	s_cbranch_execz .LBB103_5
; %bb.4:
	v_cvt_f32_u32_e32 v2, s8
	s_sub_co_i32 s1, 0, s8
	s_delay_alu instid0(VALU_DEP_1) | instskip(SKIP_1) | instid1(TRANS32_DEP_1)
	v_rcp_iflag_f32_e32 v2, v2
	v_nop
	v_mul_f32_e32 v2, 0x4f7ffffe, v2
	s_delay_alu instid0(VALU_DEP_1) | instskip(NEXT) | instid1(VALU_DEP_1)
	v_cvt_u32_f32_e32 v2, v2
	v_mul_lo_u32 v3, s1, v2
	s_delay_alu instid0(VALU_DEP_1) | instskip(NEXT) | instid1(VALU_DEP_1)
	v_mul_hi_u32 v3, v2, v3
	v_add_nc_u32_e32 v2, v2, v3
	s_delay_alu instid0(VALU_DEP_1) | instskip(NEXT) | instid1(VALU_DEP_1)
	v_mul_hi_u32 v2, v0, v2
	v_mul_lo_u32 v3, v2, s8
	s_delay_alu instid0(VALU_DEP_1) | instskip(NEXT) | instid1(VALU_DEP_1)
	v_dual_add_nc_u32 v4, 1, v2 :: v_dual_sub_nc_u32 v3, v0, v3
	v_subrev_nc_u32_e32 v5, s8, v3
	v_cmp_le_u32_e32 vcc_lo, s8, v3
	s_delay_alu instid0(VALU_DEP_2) | instskip(NEXT) | instid1(VALU_DEP_1)
	v_dual_cndmask_b32 v3, v3, v5 :: v_dual_cndmask_b32 v2, v2, v4
	v_cmp_le_u32_e32 vcc_lo, s8, v3
	s_delay_alu instid0(VALU_DEP_2) | instskip(NEXT) | instid1(VALU_DEP_1)
	v_dual_mov_b32 v3, 0 :: v_dual_add_nc_u32 v4, 1, v2
	v_cndmask_b32_e32 v2, v2, v4, vcc_lo
.LBB103_5:
	s_or_b32 exec_lo, exec_lo, s0
	s_delay_alu instid0(VALU_DEP_1) | instskip(SKIP_2) | instid1(VALU_DEP_2)
	v_mul_u64_e32 v[4:5], s[8:9], v[2:3]
                                        ; implicit-def: $vgpr8_vgpr9
	s_mov_b32 s0, exec_lo
	v_mov_b32_e32 v6, 0
	v_sub_nc_u64_e32 v[4:5], v[0:1], v[4:5]
	s_delay_alu instid0(VALU_DEP_1) | instskip(NEXT) | instid1(VALU_DEP_1)
	v_or_b32_e32 v7, s11, v5
	v_cmpx_ne_u64_e32 0, v[6:7]
	s_xor_b32 s1, exec_lo, s0
	s_cbranch_execz .LBB103_7
; %bb.6:
	s_cvt_f32_u32 s0, s10
	s_cvt_f32_u32 s2, s11
	s_sub_nc_u64 s[8:9], 0, s[10:11]
	s_mov_b32 s17, 0
	v_dual_mov_b32 v8, v4 :: v_dual_mov_b32 v9, v6
	s_fmamk_f32 s0, s2, 0x4f800000, s0
	v_dual_mov_b32 v10, v5 :: v_dual_mov_b32 v11, v6
	v_dual_mov_b32 v15, v6 :: v_dual_mov_b32 v7, v6
	s_delay_alu instid0(SALU_CYCLE_1) | instskip(NEXT) | instid1(TRANS32_DEP_1)
	v_s_rcp_f32 s0, s0
	s_mul_f32 s0, s0, 0x5f7ffffc
	s_delay_alu instid0(SALU_CYCLE_3) | instskip(NEXT) | instid1(SALU_CYCLE_3)
	s_mul_f32 s2, s0, 0x2f800000
	s_trunc_f32 s2, s2
	s_delay_alu instid0(SALU_CYCLE_3) | instskip(SKIP_1) | instid1(SALU_CYCLE_2)
	s_fmamk_f32 s0, s2, 0xcf800000, s0
	s_cvt_u32_f32 s3, s2
	s_cvt_u32_f32 s2, s0
	s_delay_alu instid0(SALU_CYCLE_3) | instskip(NEXT) | instid1(SALU_CYCLE_1)
	s_mul_u64 s[14:15], s[8:9], s[2:3]
	s_mul_hi_u32 s19, s2, s15
	s_mul_i32 s18, s2, s15
	s_mul_hi_u32 s16, s2, s14
	s_mul_i32 s20, s3, s14
	s_add_nc_u64 s[18:19], s[16:17], s[18:19]
	s_mul_hi_u32 s0, s3, s14
	s_mul_hi_u32 s21, s3, s15
	s_mul_i32 s14, s3, s15
	s_add_co_u32 s15, s18, s20
	s_add_co_ci_u32 s16, s19, s0
	s_add_co_ci_u32 s15, s21, 0
	s_delay_alu instid0(SALU_CYCLE_1) | instskip(NEXT) | instid1(SALU_CYCLE_1)
	s_add_nc_u64 s[14:15], s[16:17], s[14:15]
	s_add_co_u32 s2, s2, s14
	s_cselect_b32 s0, -1, 0
	s_delay_alu instid0(SALU_CYCLE_1) | instskip(SKIP_1) | instid1(SALU_CYCLE_1)
	s_cmp_lg_u32 s0, 0
	s_add_co_ci_u32 s3, s3, s15
	s_mul_u64 s[8:9], s[8:9], s[2:3]
	s_delay_alu instid0(SALU_CYCLE_1)
	s_mul_hi_u32 s15, s2, s9
	s_mul_i32 s14, s2, s9
	s_mul_hi_u32 s16, s2, s8
	s_mul_i32 s18, s3, s8
	s_add_nc_u64 s[14:15], s[16:17], s[14:15]
	s_mul_hi_u32 s0, s3, s8
	s_mul_hi_u32 s19, s3, s9
	s_mul_i32 s8, s3, s9
	s_add_co_u32 s9, s14, s18
	s_add_co_ci_u32 s16, s15, s0
	s_add_co_ci_u32 s9, s19, 0
	s_delay_alu instid0(SALU_CYCLE_1) | instskip(NEXT) | instid1(SALU_CYCLE_1)
	s_add_nc_u64 s[8:9], s[16:17], s[8:9]
	s_add_co_u32 s0, s2, s8
	s_cselect_b32 s2, -1, 0
	v_nop
	v_mul_hi_u32 v14, v4, s0
	s_cmp_lg_u32 s2, 0
	s_add_co_ci_u32 s16, s3, s9
	s_mov_b64 s[2:3], 0xffffffff
	v_mul_u64_e32 v[8:9], s[16:17], v[8:9]
	s_and_b64 s[2:3], s[0:1], s[2:3]
	s_delay_alu instid0(SALU_CYCLE_1) | instskip(SKIP_1) | instid1(VALU_DEP_3)
	v_mul_u64_e32 v[12:13], s[2:3], v[10:11]
	v_mul_u64_e32 v[10:11], s[16:17], v[10:11]
	v_add_nc_u64_e32 v[8:9], v[14:15], v[8:9]
	s_delay_alu instid0(VALU_DEP_1) | instskip(NEXT) | instid1(VALU_DEP_2)
	v_add_co_u32 v6, vcc_lo, v8, v12
	v_add_co_ci_u32_e32 v6, vcc_lo, v9, v13, vcc_lo
	s_delay_alu instid0(VALU_DEP_4) | instskip(NEXT) | instid1(VALU_DEP_1)
	v_add_co_ci_u32_e32 v11, vcc_lo, 0, v11, vcc_lo
	v_add_nc_u64_e32 v[6:7], v[6:7], v[10:11]
	s_delay_alu instid0(VALU_DEP_1) | instskip(NEXT) | instid1(VALU_DEP_1)
	v_mul_u64_e32 v[8:9], s[10:11], v[6:7]
	v_sub_nc_u32_e32 v10, v5, v9
	s_delay_alu instid0(VALU_DEP_2) | instskip(NEXT) | instid1(VALU_DEP_1)
	v_sub_co_u32 v8, vcc_lo, v4, v8
	v_sub_co_ci_u32_e64 v15, null, v5, v9, vcc_lo
	s_delay_alu instid0(VALU_DEP_3) | instskip(NEXT) | instid1(VALU_DEP_3)
	v_subrev_co_ci_u32_e64 v10, null, s11, v10, vcc_lo
	v_sub_co_u32 v12, s0, v8, s10
	v_cmp_le_u32_e32 vcc_lo, s10, v8
	s_delay_alu instid0(VALU_DEP_3) | instskip(NEXT) | instid1(VALU_DEP_3)
	v_subrev_co_ci_u32_e64 v13, null, 0, v10, s0
	v_cmp_le_u32_e64 s0, s10, v12
	v_add_nc_u64_e32 v[10:11], 2, v[6:7]
	v_cndmask_b32_e64 v16, 0, -1, vcc_lo
	s_delay_alu instid0(VALU_DEP_4) | instskip(SKIP_3) | instid1(VALU_DEP_1)
	v_cmp_eq_u32_e32 vcc_lo, s11, v13
	v_add_nc_u64_e32 v[8:9], 1, v[6:7]
	v_cndmask_b32_e64 v12, 0, -1, s0
	v_cmp_le_u32_e64 s0, s11, v13
	v_cndmask_b32_e64 v14, 0, -1, s0
	v_cmp_eq_u32_e64 s0, s11, v15
	s_delay_alu instid0(VALU_DEP_2) | instskip(SKIP_2) | instid1(VALU_DEP_3)
	v_cndmask_b32_e32 v12, v14, v12, vcc_lo
	v_cmp_le_u32_e32 vcc_lo, s11, v15
	v_cndmask_b32_e64 v13, 0, -1, vcc_lo
	v_cmp_ne_u32_e32 vcc_lo, 0, v12
	s_delay_alu instid0(VALU_DEP_2) | instskip(SKIP_1) | instid1(VALU_DEP_2)
	v_dual_cndmask_b32 v12, v13, v16, s0 :: v_dual_cndmask_b32 v8, v8, v10, vcc_lo
	v_cndmask_b32_e32 v9, v9, v11, vcc_lo
	v_cmp_ne_u32_e32 vcc_lo, 0, v12
	s_delay_alu instid0(VALU_DEP_2)
	v_dual_cndmask_b32 v8, v6, v8 :: v_dual_cndmask_b32 v9, v7, v9
.LBB103_7:
	s_and_not1_saveexec_b32 s0, s1
	s_cbranch_execz .LBB103_9
; %bb.8:
	v_cvt_f32_u32_e32 v6, s10
	s_sub_co_i32 s1, 0, s10
	s_delay_alu instid0(VALU_DEP_1) | instskip(SKIP_1) | instid1(TRANS32_DEP_1)
	v_rcp_iflag_f32_e32 v6, v6
	v_nop
	v_mul_f32_e32 v6, 0x4f7ffffe, v6
	s_delay_alu instid0(VALU_DEP_1) | instskip(NEXT) | instid1(VALU_DEP_1)
	v_cvt_u32_f32_e32 v6, v6
	v_mul_lo_u32 v7, s1, v6
	s_delay_alu instid0(VALU_DEP_1) | instskip(NEXT) | instid1(VALU_DEP_1)
	v_mul_hi_u32 v7, v6, v7
	v_add_nc_u32_e32 v6, v6, v7
	s_delay_alu instid0(VALU_DEP_1) | instskip(NEXT) | instid1(VALU_DEP_1)
	v_mul_hi_u32 v6, v4, v6
	v_mul_lo_u32 v7, v6, s10
	s_delay_alu instid0(VALU_DEP_1) | instskip(NEXT) | instid1(VALU_DEP_1)
	v_dual_add_nc_u32 v8, 1, v6 :: v_dual_sub_nc_u32 v7, v4, v7
	v_subrev_nc_u32_e32 v9, s10, v7
	v_cmp_le_u32_e32 vcc_lo, s10, v7
	s_delay_alu instid0(VALU_DEP_2) | instskip(NEXT) | instid1(VALU_DEP_4)
	v_dual_cndmask_b32 v7, v7, v9, vcc_lo :: v_dual_mov_b32 v9, 0
	v_cndmask_b32_e32 v6, v6, v8, vcc_lo
	s_delay_alu instid0(VALU_DEP_2) | instskip(NEXT) | instid1(VALU_DEP_2)
	v_cmp_le_u32_e32 vcc_lo, s10, v7
	v_add_nc_u32_e32 v8, 1, v6
	s_delay_alu instid0(VALU_DEP_1)
	v_cndmask_b32_e32 v8, v6, v8, vcc_lo
.LBB103_9:
	s_or_b32 exec_lo, exec_lo, s0
	s_delay_alu instid0(VALU_DEP_1) | instskip(SKIP_1) | instid1(VALU_DEP_1)
	v_mul_u64_e32 v[6:7], s[10:11], v[8:9]
	v_mad_nc_u64_u32 v[8:9], v2, s6, v[8:9]
	v_mad_u32 v3, v3, s6, v9
	s_delay_alu instid0(VALU_DEP_1) | instskip(NEXT) | instid1(VALU_DEP_4)
	v_mad_u32 v2, v2, s7, v3
	v_sub_nc_u64_e32 v[4:5], v[4:5], v[6:7]
	s_delay_alu instid0(VALU_DEP_1) | instskip(NEXT) | instid1(VALU_DEP_1)
	v_mad_nc_u64_u32 v[4:5], v8, s4, v[4:5]
	v_mad_u32 v2, v2, s4, v5
	s_delay_alu instid0(VALU_DEP_2) | instskip(NEXT) | instid1(VALU_DEP_2)
	v_cvt_f64_u32_e32 v[6:7], v4
	v_mad_u32 v5, v8, s5, v2
                                        ; implicit-def: $vgpr8
	s_delay_alu instid0(VALU_DEP_1) | instskip(SKIP_1) | instid1(VALU_DEP_2)
	v_cvt_f64_u32_e32 v[2:3], v5
	v_cmp_lt_u64_e32 vcc_lo, 0x3fffffff, v[4:5]
                                        ; implicit-def: $vgpr4_vgpr5
	v_ldexp_f64 v[2:3], v[2:3], 32
	s_delay_alu instid0(VALU_DEP_1) | instskip(SKIP_1) | instid1(SALU_CYCLE_1)
	v_add_f64_e32 v[2:3], v[2:3], v[6:7]
                                        ; implicit-def: $vgpr6_vgpr7
	s_and_saveexec_b32 s0, vcc_lo
	s_xor_b32 s0, exec_lo, s0
	s_cbranch_execz .LBB103_11
; %bb.10:
	s_delay_alu instid0(VALU_DEP_1) | instskip(SKIP_3) | instid1(VALU_DEP_3)
	v_trig_preop_f64 v[4:5], v[2:3], 0
	v_trig_preop_f64 v[6:7], v[2:3], 1
	;; [unrolled: 1-line block ×3, first 2 shown]
	s_mov_b64 s[2:3], 0x3ff921fb54442d18
	v_dual_mul_f64 v[8:9], v[4:5], v[2:3] :: v_dual_mov_b32 v24, 0
	s_delay_alu instid0(VALU_DEP_3) | instskip(NEXT) | instid1(VALU_DEP_3)
	v_mul_f64_e32 v[10:11], v[6:7], v[2:3]
	v_mul_f64_e32 v[22:23], v[16:17], v[2:3]
	s_delay_alu instid0(VALU_DEP_3) | instskip(NEXT) | instid1(VALU_DEP_3)
	v_fma_f64 v[4:5], v[4:5], v[2:3], -v[8:9]
	v_fma_f64 v[6:7], v[6:7], v[2:3], -v[10:11]
	s_delay_alu instid0(VALU_DEP_3) | instskip(NEXT) | instid1(VALU_DEP_3)
	v_fma_f64 v[2:3], v[16:17], v[2:3], -v[22:23]
	v_add_f64_e32 v[12:13], v[10:11], v[4:5]
	s_delay_alu instid0(VALU_DEP_1) | instskip(SKIP_1) | instid1(VALU_DEP_2)
	v_add_f64_e64 v[14:15], v[12:13], -v[10:11]
	v_add_f64_e32 v[20:21], v[8:9], v[12:13]
	v_add_f64_e64 v[18:19], v[12:13], -v[14:15]
	v_add_f64_e64 v[4:5], v[4:5], -v[14:15]
	s_delay_alu instid0(VALU_DEP_3) | instskip(NEXT) | instid1(VALU_DEP_3)
	v_ldexp_f64 v[14:15], v[20:21], -2
	v_add_f64_e64 v[10:11], v[10:11], -v[18:19]
	v_add_f64_e32 v[18:19], v[22:23], v[6:7]
	s_delay_alu instid0(VALU_DEP_3) | instskip(NEXT) | instid1(VALU_DEP_3)
	v_cmp_neq_f64_e64 vcc_lo, 0x7ff00000, |v[14:15]|
	v_add_f64_e32 v[4:5], v[4:5], v[10:11]
	v_fract_f64_e32 v[10:11], v[14:15]
	s_delay_alu instid0(VALU_DEP_1) | instskip(NEXT) | instid1(VALU_DEP_1)
	v_ldexp_f64 v[10:11], v[10:11], 2
	v_dual_add_f64 v[8:9], v[20:21], -v[8:9] :: v_dual_cndmask_b32 v10, 0, v10, vcc_lo
	s_delay_alu instid0(VALU_DEP_1) | instskip(SKIP_1) | instid1(VALU_DEP_1)
	v_dual_add_f64 v[8:9], v[12:13], -v[8:9] :: v_dual_cndmask_b32 v11, 0, v11, vcc_lo
	v_add_f64_e32 v[12:13], v[18:19], v[4:5]
	v_add_f64_e32 v[14:15], v[8:9], v[12:13]
	v_add_f64_e64 v[26:27], v[12:13], -v[18:19]
	s_delay_alu instid0(VALU_DEP_2) | instskip(NEXT) | instid1(VALU_DEP_2)
	v_add_f64_e32 v[20:21], v[14:15], v[10:11]
	v_add_f64_e64 v[32:33], v[12:13], -v[26:27]
	v_add_f64_e64 v[4:5], v[4:5], -v[26:27]
	;; [unrolled: 1-line block ×3, first 2 shown]
	s_delay_alu instid0(VALU_DEP_4) | instskip(SKIP_1) | instid1(VALU_DEP_3)
	v_cmp_gt_f64_e32 vcc_lo, 0, v[20:21]
	v_add_f64_e64 v[20:21], v[18:19], -v[22:23]
	v_add_f64_e64 v[8:9], v[12:13], -v[8:9]
	v_cndmask_b32_e64 v25, 0, 0x40100000, vcc_lo
	s_delay_alu instid0(VALU_DEP_3) | instskip(SKIP_2) | instid1(VALU_DEP_4)
	v_add_f64_e64 v[30:31], v[18:19], -v[20:21]
	v_add_f64_e64 v[6:7], v[6:7], -v[20:21]
	;; [unrolled: 1-line block ×3, first 2 shown]
	v_add_f64_e32 v[10:11], v[10:11], v[24:25]
	s_delay_alu instid0(VALU_DEP_4) | instskip(NEXT) | instid1(VALU_DEP_3)
	v_add_f64_e64 v[20:21], v[22:23], -v[30:31]
	v_add_f64_e32 v[4:5], v[4:5], v[18:19]
	s_delay_alu instid0(VALU_DEP_3) | instskip(NEXT) | instid1(VALU_DEP_3)
	v_add_f64_e32 v[28:29], v[14:15], v[10:11]
	v_add_f64_e32 v[6:7], v[6:7], v[20:21]
	s_delay_alu instid0(VALU_DEP_2) | instskip(NEXT) | instid1(VALU_DEP_2)
	v_cvt_i32_f64_e32 v25, v[28:29]
	v_add_f64_e32 v[4:5], v[6:7], v[4:5]
	s_delay_alu instid0(VALU_DEP_2) | instskip(NEXT) | instid1(VALU_DEP_2)
	v_cvt_f64_i32_e32 v[26:27], v25
	v_add_f64_e32 v[2:3], v[2:3], v[4:5]
	s_delay_alu instid0(VALU_DEP_2) | instskip(NEXT) | instid1(VALU_DEP_2)
	v_add_f64_e64 v[10:11], v[10:11], -v[26:27]
	v_add_f64_e32 v[2:3], v[8:9], v[2:3]
	s_delay_alu instid0(VALU_DEP_2) | instskip(NEXT) | instid1(VALU_DEP_1)
	v_add_f64_e32 v[6:7], v[14:15], v[10:11]
	v_add_f64_e64 v[4:5], v[6:7], -v[10:11]
	v_cmp_le_f64_e32 vcc_lo, 0.5, v[6:7]
	s_delay_alu instid0(VALU_DEP_2) | instskip(SKIP_2) | instid1(VALU_DEP_3)
	v_add_f64_e64 v[4:5], v[14:15], -v[4:5]
	v_add_co_ci_u32_e64 v8, null, 0, v25, vcc_lo
	v_cndmask_b32_e64 v25, 0, 0x3ff00000, vcc_lo
	v_add_f64_e32 v[2:3], v[2:3], v[4:5]
	s_delay_alu instid0(VALU_DEP_2) | instskip(NEXT) | instid1(VALU_DEP_1)
	v_add_f64_e64 v[4:5], v[6:7], -v[24:25]
	v_add_f64_e32 v[6:7], v[4:5], v[2:3]
	s_delay_alu instid0(VALU_DEP_1) | instskip(SKIP_1) | instid1(VALU_DEP_2)
	v_mul_f64_e32 v[10:11], 0x3ff921fb54442d18, v[6:7]
	v_add_f64_e64 v[4:5], v[6:7], -v[4:5]
	v_fma_f64 v[12:13], v[6:7], s[2:3], -v[10:11]
	s_delay_alu instid0(VALU_DEP_2) | instskip(NEXT) | instid1(VALU_DEP_2)
	v_add_f64_e64 v[2:3], v[2:3], -v[4:5]
	v_fmamk_f64 v[6:7], v[6:7], 0x3c91a62633145c07, v[12:13]
	s_delay_alu instid0(VALU_DEP_1) | instskip(NEXT) | instid1(VALU_DEP_1)
	v_fmac_f64_e32 v[6:7], 0x3ff921fb54442d18, v[2:3]
	v_add_f64_e32 v[4:5], v[10:11], v[6:7]
	s_delay_alu instid0(VALU_DEP_1) | instskip(NEXT) | instid1(VALU_DEP_1)
	v_add_f64_e64 v[2:3], v[4:5], -v[10:11]
	v_add_f64_e64 v[6:7], v[6:7], -v[2:3]
                                        ; implicit-def: $vgpr2_vgpr3
.LBB103_11:
	s_and_not1_saveexec_b32 s0, s0
	s_cbranch_execz .LBB103_13
; %bb.12:
	s_delay_alu instid0(VALU_DEP_1) | instskip(NEXT) | instid1(VALU_DEP_1)
	v_mul_f64_e32 v[4:5], 0x3fe45f306dc9c883, v[2:3]
	v_rndne_f64_e32 v[8:9], v[4:5]
	s_delay_alu instid0(VALU_DEP_1) | instskip(SKIP_1) | instid1(VALU_DEP_1)
	v_mul_f64_e32 v[4:5], 0xbc91a62633145c00, v[8:9]
	v_fmamk_f64 v[2:3], v[8:9], 0xbff921fb54442d18, v[2:3]
	v_add_f64_e32 v[6:7], v[2:3], v[4:5]
	s_delay_alu instid0(VALU_DEP_1) | instskip(SKIP_1) | instid1(VALU_DEP_1)
	v_add_f64_e64 v[10:11], v[2:3], -v[6:7]
	v_fmamk_f64 v[2:3], v[8:9], 0xbc91a62633145c00, v[2:3]
	v_add_f64_e64 v[6:7], v[6:7], -v[2:3]
	s_delay_alu instid0(VALU_DEP_3) | instskip(SKIP_1) | instid1(VALU_DEP_2)
	v_add_f64_e32 v[10:11], v[10:11], v[4:5]
	v_fmamk_f64 v[4:5], v[8:9], 0x3c91a62633145c00, v[4:5]
	v_add_f64_e32 v[6:7], v[6:7], v[10:11]
	s_delay_alu instid0(VALU_DEP_1) | instskip(NEXT) | instid1(VALU_DEP_1)
	v_add_f64_e64 v[4:5], v[6:7], -v[4:5]
	v_fmamk_f64 v[6:7], v[8:9], 0xb97b839a252049c0, v[4:5]
	v_cvt_i32_f64_e32 v8, v[8:9]
	s_delay_alu instid0(VALU_DEP_2) | instskip(NEXT) | instid1(VALU_DEP_1)
	v_add_f64_e32 v[4:5], v[2:3], v[6:7]
	v_add_f64_e64 v[2:3], v[4:5], -v[2:3]
	s_delay_alu instid0(VALU_DEP_1)
	v_add_f64_e64 v[6:7], v[6:7], -v[2:3]
.LBB103_13:
	s_or_b32 exec_lo, exec_lo, s0
	v_mul_f64_e32 v[2:3], v[4:5], v[4:5]
	s_delay_alu instid0(VALU_DEP_2) | instskip(SKIP_2) | instid1(VALU_DEP_3)
	v_mul_f64_e32 v[16:17], 0.5, v[6:7]
	s_mov_b64 s[0:1], 0x3de5e0b2f9a43bb8
	v_add_nc_u64_e32 v[0:1], s[12:13], v[0:1]
	v_mul_f64_e32 v[10:11], 0.5, v[2:3]
	v_mul_f64_e64 v[18:19], v[4:5], -v[2:3]
	v_fmaak_f64 v[20:21], s[0:1], v[2:3], 0xbe5ae600b42fdfa7
	s_mov_b64 s[0:1], 0xbda907db46cc5e42
	s_delay_alu instid0(VALU_DEP_1) | instskip(NEXT) | instid1(VALU_DEP_4)
	v_fmaak_f64 v[20:21], v[2:3], v[20:21], 0x3ec71de3796cde01
	v_add_f64_e64 v[12:13], -v[10:11], 1.0
	s_delay_alu instid0(VALU_DEP_1) | instskip(NEXT) | instid1(VALU_DEP_1)
	v_add_f64_e64 v[14:15], -v[12:13], 1.0
	v_add_f64_e64 v[10:11], v[14:15], -v[10:11]
	s_delay_alu instid0(VALU_DEP_4) | instskip(SKIP_1) | instid1(VALU_DEP_2)
	v_fmaak_f64 v[14:15], v[2:3], v[20:21], 0xbf2a01a019e83e5c
	v_mul_f64_e32 v[20:21], v[2:3], v[2:3]
	v_fmaak_f64 v[14:15], v[2:3], v[14:15], 0x3f81111111110bb3
	s_delay_alu instid0(VALU_DEP_1) | instskip(SKIP_1) | instid1(VALU_DEP_1)
	v_fmac_f64_e32 v[16:17], v[18:19], v[14:15]
	v_fmaak_f64 v[14:15], s[0:1], v[2:3], 0x3e21eeb69037ab78
	v_fmaak_f64 v[14:15], v[2:3], v[14:15], 0xbe927e4fa17f65f6
	s_delay_alu instid0(VALU_DEP_1) | instskip(SKIP_1) | instid1(VALU_DEP_2)
	v_fmaak_f64 v[14:15], v[2:3], v[14:15], 0x3efa01a019f4ec90
	v_fma_f64 v[10:11], v[4:5], -v[6:7], v[10:11]
	v_fmaak_f64 v[14:15], v[2:3], v[14:15], 0xbf56c16c16c16967
	v_fma_f64 v[6:7], v[2:3], v[16:17], -v[6:7]
	s_delay_alu instid0(VALU_DEP_2) | instskip(NEXT) | instid1(VALU_DEP_1)
	v_fmaak_f64 v[2:3], v[2:3], v[14:15], 0x3fa5555555555555
	v_fmac_f64_e32 v[10:11], v[20:21], v[2:3]
	s_delay_alu instid0(VALU_DEP_3) | instskip(SKIP_1) | instid1(VALU_DEP_1)
	v_fmamk_f64 v[2:3], v[18:19], 0xbfc5555555555555, v[6:7]
	v_and_b32_e32 v6, 1, v8
	v_cmp_eq_u32_e32 vcc_lo, 0, v6
	s_delay_alu instid0(VALU_DEP_3) | instskip(SKIP_1) | instid1(VALU_DEP_2)
	v_add_f64_e64 v[2:3], v[4:5], -v[2:3]
	v_add_f64_e32 v[4:5], v[12:13], v[10:11]
	v_xor_b32_e32 v3, 0x80000000, v3
	s_delay_alu instid0(VALU_DEP_1) | instskip(SKIP_1) | instid1(VALU_DEP_1)
	v_dual_cndmask_b32 v2, v2, v4 :: v_dual_cndmask_b32 v3, v3, v5
	v_lshlrev_b32_e32 v4, 30, v8
	v_bitop3_b32 v3, v3, v4, 0x80000000 bitop3:0x78
	s_delay_alu instid0(VALU_DEP_1)
	v_cvt_i32_f64_e32 v2, v[2:3]
	global_store_b8 v[0:1], v2, off
.LBB103_14:
	s_endpgm
	.section	.rodata,"a",@progbits
	.p2align	6, 0x0
	.amdhsa_kernel _Z11fill_kernelIaZ21hipblaslt_init_deviceIaEv8ABC_dims24hipblaslt_initializationbPT_mmmmmEUlmE3_EvS4_mmT0_
		.amdhsa_group_segment_fixed_size 0
		.amdhsa_private_segment_fixed_size 0
		.amdhsa_kernarg_size 312
		.amdhsa_user_sgpr_count 2
		.amdhsa_user_sgpr_dispatch_ptr 0
		.amdhsa_user_sgpr_queue_ptr 0
		.amdhsa_user_sgpr_kernarg_segment_ptr 1
		.amdhsa_user_sgpr_dispatch_id 0
		.amdhsa_user_sgpr_kernarg_preload_length 0
		.amdhsa_user_sgpr_kernarg_preload_offset 0
		.amdhsa_user_sgpr_private_segment_size 0
		.amdhsa_wavefront_size32 1
		.amdhsa_uses_dynamic_stack 0
		.amdhsa_enable_private_segment 0
		.amdhsa_system_sgpr_workgroup_id_x 1
		.amdhsa_system_sgpr_workgroup_id_y 0
		.amdhsa_system_sgpr_workgroup_id_z 0
		.amdhsa_system_sgpr_workgroup_info 0
		.amdhsa_system_vgpr_workitem_id 0
		.amdhsa_next_free_vgpr 34
		.amdhsa_next_free_sgpr 24
		.amdhsa_named_barrier_count 0
		.amdhsa_reserve_vcc 1
		.amdhsa_float_round_mode_32 0
		.amdhsa_float_round_mode_16_64 0
		.amdhsa_float_denorm_mode_32 3
		.amdhsa_float_denorm_mode_16_64 3
		.amdhsa_fp16_overflow 0
		.amdhsa_memory_ordered 1
		.amdhsa_forward_progress 1
		.amdhsa_inst_pref_size 22
		.amdhsa_round_robin_scheduling 0
		.amdhsa_exception_fp_ieee_invalid_op 0
		.amdhsa_exception_fp_denorm_src 0
		.amdhsa_exception_fp_ieee_div_zero 0
		.amdhsa_exception_fp_ieee_overflow 0
		.amdhsa_exception_fp_ieee_underflow 0
		.amdhsa_exception_fp_ieee_inexact 0
		.amdhsa_exception_int_div_zero 0
	.end_amdhsa_kernel
	.section	.text._Z11fill_kernelIaZ21hipblaslt_init_deviceIaEv8ABC_dims24hipblaslt_initializationbPT_mmmmmEUlmE3_EvS4_mmT0_,"axG",@progbits,_Z11fill_kernelIaZ21hipblaslt_init_deviceIaEv8ABC_dims24hipblaslt_initializationbPT_mmmmmEUlmE3_EvS4_mmT0_,comdat
.Lfunc_end103:
	.size	_Z11fill_kernelIaZ21hipblaslt_init_deviceIaEv8ABC_dims24hipblaslt_initializationbPT_mmmmmEUlmE3_EvS4_mmT0_, .Lfunc_end103-_Z11fill_kernelIaZ21hipblaslt_init_deviceIaEv8ABC_dims24hipblaslt_initializationbPT_mmmmmEUlmE3_EvS4_mmT0_
                                        ; -- End function
	.set _Z11fill_kernelIaZ21hipblaslt_init_deviceIaEv8ABC_dims24hipblaslt_initializationbPT_mmmmmEUlmE3_EvS4_mmT0_.num_vgpr, 34
	.set _Z11fill_kernelIaZ21hipblaslt_init_deviceIaEv8ABC_dims24hipblaslt_initializationbPT_mmmmmEUlmE3_EvS4_mmT0_.num_agpr, 0
	.set _Z11fill_kernelIaZ21hipblaslt_init_deviceIaEv8ABC_dims24hipblaslt_initializationbPT_mmmmmEUlmE3_EvS4_mmT0_.numbered_sgpr, 24
	.set _Z11fill_kernelIaZ21hipblaslt_init_deviceIaEv8ABC_dims24hipblaslt_initializationbPT_mmmmmEUlmE3_EvS4_mmT0_.num_named_barrier, 0
	.set _Z11fill_kernelIaZ21hipblaslt_init_deviceIaEv8ABC_dims24hipblaslt_initializationbPT_mmmmmEUlmE3_EvS4_mmT0_.private_seg_size, 0
	.set _Z11fill_kernelIaZ21hipblaslt_init_deviceIaEv8ABC_dims24hipblaslt_initializationbPT_mmmmmEUlmE3_EvS4_mmT0_.uses_vcc, 1
	.set _Z11fill_kernelIaZ21hipblaslt_init_deviceIaEv8ABC_dims24hipblaslt_initializationbPT_mmmmmEUlmE3_EvS4_mmT0_.uses_flat_scratch, 0
	.set _Z11fill_kernelIaZ21hipblaslt_init_deviceIaEv8ABC_dims24hipblaslt_initializationbPT_mmmmmEUlmE3_EvS4_mmT0_.has_dyn_sized_stack, 0
	.set _Z11fill_kernelIaZ21hipblaslt_init_deviceIaEv8ABC_dims24hipblaslt_initializationbPT_mmmmmEUlmE3_EvS4_mmT0_.has_recursion, 0
	.set _Z11fill_kernelIaZ21hipblaslt_init_deviceIaEv8ABC_dims24hipblaslt_initializationbPT_mmmmmEUlmE3_EvS4_mmT0_.has_indirect_call, 0
	.section	.AMDGPU.csdata,"",@progbits
; Kernel info:
; codeLenInByte = 2748
; TotalNumSgprs: 26
; NumVgprs: 34
; ScratchSize: 0
; MemoryBound: 0
; FloatMode: 240
; IeeeMode: 1
; LDSByteSize: 0 bytes/workgroup (compile time only)
; SGPRBlocks: 0
; VGPRBlocks: 2
; NumSGPRsForWavesPerEU: 26
; NumVGPRsForWavesPerEU: 34
; NamedBarCnt: 0
; Occupancy: 16
; WaveLimiterHint : 0
; COMPUTE_PGM_RSRC2:SCRATCH_EN: 0
; COMPUTE_PGM_RSRC2:USER_SGPR: 2
; COMPUTE_PGM_RSRC2:TRAP_HANDLER: 0
; COMPUTE_PGM_RSRC2:TGID_X_EN: 1
; COMPUTE_PGM_RSRC2:TGID_Y_EN: 0
; COMPUTE_PGM_RSRC2:TGID_Z_EN: 0
; COMPUTE_PGM_RSRC2:TIDIG_COMP_CNT: 0
	.section	.text._Z11fill_kernelIaZ21hipblaslt_init_deviceIaEv8ABC_dims24hipblaslt_initializationbPT_mmmmmEUlmE4_EvS4_mmT0_,"axG",@progbits,_Z11fill_kernelIaZ21hipblaslt_init_deviceIaEv8ABC_dims24hipblaslt_initializationbPT_mmmmmEUlmE4_EvS4_mmT0_,comdat
	.protected	_Z11fill_kernelIaZ21hipblaslt_init_deviceIaEv8ABC_dims24hipblaslt_initializationbPT_mmmmmEUlmE4_EvS4_mmT0_ ; -- Begin function _Z11fill_kernelIaZ21hipblaslt_init_deviceIaEv8ABC_dims24hipblaslt_initializationbPT_mmmmmEUlmE4_EvS4_mmT0_
	.globl	_Z11fill_kernelIaZ21hipblaslt_init_deviceIaEv8ABC_dims24hipblaslt_initializationbPT_mmmmmEUlmE4_EvS4_mmT0_
	.p2align	8
	.type	_Z11fill_kernelIaZ21hipblaslt_init_deviceIaEv8ABC_dims24hipblaslt_initializationbPT_mmmmmEUlmE4_EvS4_mmT0_,@function
_Z11fill_kernelIaZ21hipblaslt_init_deviceIaEv8ABC_dims24hipblaslt_initializationbPT_mmmmmEUlmE4_EvS4_mmT0_: ; @_Z11fill_kernelIaZ21hipblaslt_init_deviceIaEv8ABC_dims24hipblaslt_initializationbPT_mmmmmEUlmE4_EvS4_mmT0_
; %bb.0:
	s_clause 0x1
	s_load_b32 s2, s[0:1], 0x2c
	s_load_b128 s[4:7], s[0:1], 0x0
	s_bfe_u32 s3, ttmp6, 0x4000c
	s_and_b32 s8, ttmp6, 15
	s_add_co_i32 s3, s3, 1
	s_getreg_b32 s9, hwreg(HW_REG_IB_STS2, 6, 4)
	s_mul_i32 s3, ttmp9, s3
	v_mov_b32_e32 v1, 0
	s_add_co_i32 s8, s8, s3
	s_wait_kmcnt 0x0
	s_and_b32 s2, s2, 0xffff
	s_cmp_eq_u32 s9, 0
	s_cselect_b32 s3, ttmp9, s8
	s_delay_alu instid0(SALU_CYCLE_1) | instskip(SKIP_1) | instid1(VALU_DEP_1)
	v_mad_u32 v0, s3, s2, v0
	s_mov_b32 s2, exec_lo
	v_cmpx_gt_u64_e64 s[6:7], v[0:1]
	s_cbranch_execz .LBB104_2
; %bb.1:
	s_load_b64 s[0:1], s[0:1], 0x10
	s_wait_kmcnt 0x0
	v_add_nc_u64_e32 v[0:1], s[0:1], v[0:1]
	s_mov_b32 s0, 0x19660d
	s_delay_alu instid0(VALU_DEP_1) | instid1(SALU_CYCLE_1)
	v_mad_nc_u64_u32 v[2:3], v0, s0, 0x3c6ef35f
	s_mov_b64 s[0:1], 0x41efffffffe00000
	s_delay_alu instid0(VALU_DEP_1) | instskip(SKIP_1) | instid1(VALU_DEP_2)
	v_mad_u32 v3, 0x19660d, v1, v3
	v_add_nc_u64_e32 v[0:1], s[4:5], v[0:1]
	v_lshlrev_b64_e32 v[4:5], 13, v[2:3]
	s_delay_alu instid0(VALU_DEP_1) | instskip(NEXT) | instid1(VALU_DEP_2)
	v_xor_b32_e32 v3, v5, v3
	v_xor_b32_e32 v2, v4, v2
	s_delay_alu instid0(VALU_DEP_1) | instskip(NEXT) | instid1(VALU_DEP_1)
	v_lshrrev_b64 v[4:5], 17, v[2:3]
	v_xor_b32_e32 v3, v5, v3
	s_delay_alu instid0(VALU_DEP_2) | instskip(NEXT) | instid1(VALU_DEP_1)
	v_xor_b32_e32 v2, v4, v2
	v_lshlrev_b64_e32 v[4:5], 5, v[2:3]
	s_delay_alu instid0(VALU_DEP_1) | instskip(NEXT) | instid1(VALU_DEP_2)
	v_xor_b32_e32 v3, v5, v3
	v_xor_b32_e32 v2, v4, v2
	s_delay_alu instid0(VALU_DEP_1) | instskip(NEXT) | instid1(VALU_DEP_1)
	v_lshlrev_b64_e32 v[4:5], 13, v[2:3]
	v_xor_b32_e32 v3, v5, v3
	s_delay_alu instid0(VALU_DEP_2) | instskip(NEXT) | instid1(VALU_DEP_1)
	v_xor_b32_e32 v2, v4, v2
	v_lshrrev_b64 v[4:5], 17, v[2:3]
	s_delay_alu instid0(VALU_DEP_1) | instskip(NEXT) | instid1(VALU_DEP_2)
	v_xor_b32_e32 v3, v5, v3
	v_xor_b32_e32 v2, v4, v2
	s_delay_alu instid0(VALU_DEP_1) | instskip(NEXT) | instid1(VALU_DEP_1)
	v_lshlrev_b64_e32 v[4:5], 5, v[2:3]
	v_xor_b32_e32 v3, v5, v3
	s_delay_alu instid0(VALU_DEP_2) | instskip(NEXT) | instid1(VALU_DEP_1)
	v_xor_b32_e32 v2, v4, v2
	v_lshlrev_b64_e32 v[4:5], 13, v[2:3]
	s_delay_alu instid0(VALU_DEP_1) | instskip(NEXT) | instid1(VALU_DEP_2)
	v_xor_b32_e32 v3, v5, v3
	v_xor_b32_e32 v2, v4, v2
	s_delay_alu instid0(VALU_DEP_1) | instskip(NEXT) | instid1(VALU_DEP_1)
	v_alignbit_b32 v3, v3, v2, 17
	v_xor_b32_e32 v2, v3, v2
	s_delay_alu instid0(VALU_DEP_1) | instskip(NEXT) | instid1(VALU_DEP_1)
	v_lshlrev_b32_e32 v3, 5, v2
	v_xor_b32_e32 v2, v3, v2
	s_delay_alu instid0(VALU_DEP_1) | instskip(NEXT) | instid1(VALU_DEP_1)
	v_cvt_f64_u32_e32 v[2:3], v2
	v_div_scale_f64 v[4:5], null, s[0:1], s[0:1], v[2:3]
	v_div_scale_f64 v[10:11], vcc_lo, v[2:3], s[0:1], v[2:3]
	s_delay_alu instid0(VALU_DEP_2) | instskip(SKIP_1) | instid1(TRANS32_DEP_1)
	v_rcp_f64_e32 v[6:7], v[4:5]
	v_nop
	v_fma_f64 v[8:9], -v[4:5], v[6:7], 1.0
	s_delay_alu instid0(VALU_DEP_1) | instskip(NEXT) | instid1(VALU_DEP_1)
	v_fmac_f64_e32 v[6:7], v[6:7], v[8:9]
	v_fma_f64 v[8:9], -v[4:5], v[6:7], 1.0
	s_delay_alu instid0(VALU_DEP_1) | instskip(NEXT) | instid1(VALU_DEP_1)
	v_fmac_f64_e32 v[6:7], v[6:7], v[8:9]
	v_mul_f64_e32 v[8:9], v[10:11], v[6:7]
	s_delay_alu instid0(VALU_DEP_1) | instskip(NEXT) | instid1(VALU_DEP_1)
	v_fma_f64 v[4:5], -v[4:5], v[8:9], v[10:11]
	v_div_fmas_f64 v[4:5], v[4:5], v[6:7], v[8:9]
	s_delay_alu instid0(VALU_DEP_1) | instskip(NEXT) | instid1(VALU_DEP_1)
	v_div_fixup_f64 v[2:3], v[4:5], s[0:1], v[2:3]
	v_fma_f64 v[2:3], v[2:3], 2.0, -1.0
	s_delay_alu instid0(VALU_DEP_1) | instskip(NEXT) | instid1(VALU_DEP_1)
	v_rndne_f64_e32 v[2:3], v[2:3]
	v_cmp_ngt_f64_e32 vcc_lo, 0xc0600000, v[2:3]
	v_cmp_nlt_f64_e64 s0, 0x405fc000, v[2:3]
	v_cndmask_b32_e32 v4, 0xc0600000, v3, vcc_lo
	s_and_b32 vcc_lo, s0, vcc_lo
	v_cndmask_b32_e32 v2, 0, v2, vcc_lo
	s_delay_alu instid0(VALU_DEP_2) | instskip(NEXT) | instid1(VALU_DEP_1)
	v_cndmask_b32_e64 v3, 0x405fc000, v4, s0
	v_cvt_i32_f64_e32 v2, v[2:3]
	global_store_b8 v[0:1], v2, off
.LBB104_2:
	s_endpgm
	.section	.rodata,"a",@progbits
	.p2align	6, 0x0
	.amdhsa_kernel _Z11fill_kernelIaZ21hipblaslt_init_deviceIaEv8ABC_dims24hipblaslt_initializationbPT_mmmmmEUlmE4_EvS4_mmT0_
		.amdhsa_group_segment_fixed_size 0
		.amdhsa_private_segment_fixed_size 0
		.amdhsa_kernarg_size 288
		.amdhsa_user_sgpr_count 2
		.amdhsa_user_sgpr_dispatch_ptr 0
		.amdhsa_user_sgpr_queue_ptr 0
		.amdhsa_user_sgpr_kernarg_segment_ptr 1
		.amdhsa_user_sgpr_dispatch_id 0
		.amdhsa_user_sgpr_kernarg_preload_length 0
		.amdhsa_user_sgpr_kernarg_preload_offset 0
		.amdhsa_user_sgpr_private_segment_size 0
		.amdhsa_wavefront_size32 1
		.amdhsa_uses_dynamic_stack 0
		.amdhsa_enable_private_segment 0
		.amdhsa_system_sgpr_workgroup_id_x 1
		.amdhsa_system_sgpr_workgroup_id_y 0
		.amdhsa_system_sgpr_workgroup_id_z 0
		.amdhsa_system_sgpr_workgroup_info 0
		.amdhsa_system_vgpr_workitem_id 0
		.amdhsa_next_free_vgpr 12
		.amdhsa_next_free_sgpr 10
		.amdhsa_named_barrier_count 0
		.amdhsa_reserve_vcc 1
		.amdhsa_float_round_mode_32 0
		.amdhsa_float_round_mode_16_64 0
		.amdhsa_float_denorm_mode_32 3
		.amdhsa_float_denorm_mode_16_64 3
		.amdhsa_fp16_overflow 0
		.amdhsa_memory_ordered 1
		.amdhsa_forward_progress 1
		.amdhsa_inst_pref_size 5
		.amdhsa_round_robin_scheduling 0
		.amdhsa_exception_fp_ieee_invalid_op 0
		.amdhsa_exception_fp_denorm_src 0
		.amdhsa_exception_fp_ieee_div_zero 0
		.amdhsa_exception_fp_ieee_overflow 0
		.amdhsa_exception_fp_ieee_underflow 0
		.amdhsa_exception_fp_ieee_inexact 0
		.amdhsa_exception_int_div_zero 0
	.end_amdhsa_kernel
	.section	.text._Z11fill_kernelIaZ21hipblaslt_init_deviceIaEv8ABC_dims24hipblaslt_initializationbPT_mmmmmEUlmE4_EvS4_mmT0_,"axG",@progbits,_Z11fill_kernelIaZ21hipblaslt_init_deviceIaEv8ABC_dims24hipblaslt_initializationbPT_mmmmmEUlmE4_EvS4_mmT0_,comdat
.Lfunc_end104:
	.size	_Z11fill_kernelIaZ21hipblaslt_init_deviceIaEv8ABC_dims24hipblaslt_initializationbPT_mmmmmEUlmE4_EvS4_mmT0_, .Lfunc_end104-_Z11fill_kernelIaZ21hipblaslt_init_deviceIaEv8ABC_dims24hipblaslt_initializationbPT_mmmmmEUlmE4_EvS4_mmT0_
                                        ; -- End function
	.set _Z11fill_kernelIaZ21hipblaslt_init_deviceIaEv8ABC_dims24hipblaslt_initializationbPT_mmmmmEUlmE4_EvS4_mmT0_.num_vgpr, 12
	.set _Z11fill_kernelIaZ21hipblaslt_init_deviceIaEv8ABC_dims24hipblaslt_initializationbPT_mmmmmEUlmE4_EvS4_mmT0_.num_agpr, 0
	.set _Z11fill_kernelIaZ21hipblaslt_init_deviceIaEv8ABC_dims24hipblaslt_initializationbPT_mmmmmEUlmE4_EvS4_mmT0_.numbered_sgpr, 10
	.set _Z11fill_kernelIaZ21hipblaslt_init_deviceIaEv8ABC_dims24hipblaslt_initializationbPT_mmmmmEUlmE4_EvS4_mmT0_.num_named_barrier, 0
	.set _Z11fill_kernelIaZ21hipblaslt_init_deviceIaEv8ABC_dims24hipblaslt_initializationbPT_mmmmmEUlmE4_EvS4_mmT0_.private_seg_size, 0
	.set _Z11fill_kernelIaZ21hipblaslt_init_deviceIaEv8ABC_dims24hipblaslt_initializationbPT_mmmmmEUlmE4_EvS4_mmT0_.uses_vcc, 1
	.set _Z11fill_kernelIaZ21hipblaslt_init_deviceIaEv8ABC_dims24hipblaslt_initializationbPT_mmmmmEUlmE4_EvS4_mmT0_.uses_flat_scratch, 0
	.set _Z11fill_kernelIaZ21hipblaslt_init_deviceIaEv8ABC_dims24hipblaslt_initializationbPT_mmmmmEUlmE4_EvS4_mmT0_.has_dyn_sized_stack, 0
	.set _Z11fill_kernelIaZ21hipblaslt_init_deviceIaEv8ABC_dims24hipblaslt_initializationbPT_mmmmmEUlmE4_EvS4_mmT0_.has_recursion, 0
	.set _Z11fill_kernelIaZ21hipblaslt_init_deviceIaEv8ABC_dims24hipblaslt_initializationbPT_mmmmmEUlmE4_EvS4_mmT0_.has_indirect_call, 0
	.section	.AMDGPU.csdata,"",@progbits
; Kernel info:
; codeLenInByte = 524
; TotalNumSgprs: 12
; NumVgprs: 12
; ScratchSize: 0
; MemoryBound: 0
; FloatMode: 240
; IeeeMode: 1
; LDSByteSize: 0 bytes/workgroup (compile time only)
; SGPRBlocks: 0
; VGPRBlocks: 0
; NumSGPRsForWavesPerEU: 12
; NumVGPRsForWavesPerEU: 12
; NamedBarCnt: 0
; Occupancy: 16
; WaveLimiterHint : 0
; COMPUTE_PGM_RSRC2:SCRATCH_EN: 0
; COMPUTE_PGM_RSRC2:USER_SGPR: 2
; COMPUTE_PGM_RSRC2:TRAP_HANDLER: 0
; COMPUTE_PGM_RSRC2:TGID_X_EN: 1
; COMPUTE_PGM_RSRC2:TGID_Y_EN: 0
; COMPUTE_PGM_RSRC2:TGID_Z_EN: 0
; COMPUTE_PGM_RSRC2:TIDIG_COMP_CNT: 0
	.section	.text._Z11fill_kernelIaZ21hipblaslt_init_deviceIaEv8ABC_dims24hipblaslt_initializationbPT_mmmmmEUlmE5_EvS4_mmT0_,"axG",@progbits,_Z11fill_kernelIaZ21hipblaslt_init_deviceIaEv8ABC_dims24hipblaslt_initializationbPT_mmmmmEUlmE5_EvS4_mmT0_,comdat
	.protected	_Z11fill_kernelIaZ21hipblaslt_init_deviceIaEv8ABC_dims24hipblaslt_initializationbPT_mmmmmEUlmE5_EvS4_mmT0_ ; -- Begin function _Z11fill_kernelIaZ21hipblaslt_init_deviceIaEv8ABC_dims24hipblaslt_initializationbPT_mmmmmEUlmE5_EvS4_mmT0_
	.globl	_Z11fill_kernelIaZ21hipblaslt_init_deviceIaEv8ABC_dims24hipblaslt_initializationbPT_mmmmmEUlmE5_EvS4_mmT0_
	.p2align	8
	.type	_Z11fill_kernelIaZ21hipblaslt_init_deviceIaEv8ABC_dims24hipblaslt_initializationbPT_mmmmmEUlmE5_EvS4_mmT0_,@function
_Z11fill_kernelIaZ21hipblaslt_init_deviceIaEv8ABC_dims24hipblaslt_initializationbPT_mmmmmEUlmE5_EvS4_mmT0_: ; @_Z11fill_kernelIaZ21hipblaslt_init_deviceIaEv8ABC_dims24hipblaslt_initializationbPT_mmmmmEUlmE5_EvS4_mmT0_
; %bb.0:
	s_endpgm
	.section	.rodata,"a",@progbits
	.p2align	6, 0x0
	.amdhsa_kernel _Z11fill_kernelIaZ21hipblaslt_init_deviceIaEv8ABC_dims24hipblaslt_initializationbPT_mmmmmEUlmE5_EvS4_mmT0_
		.amdhsa_group_segment_fixed_size 0
		.amdhsa_private_segment_fixed_size 0
		.amdhsa_kernarg_size 28
		.amdhsa_user_sgpr_count 2
		.amdhsa_user_sgpr_dispatch_ptr 0
		.amdhsa_user_sgpr_queue_ptr 0
		.amdhsa_user_sgpr_kernarg_segment_ptr 1
		.amdhsa_user_sgpr_dispatch_id 0
		.amdhsa_user_sgpr_kernarg_preload_length 0
		.amdhsa_user_sgpr_kernarg_preload_offset 0
		.amdhsa_user_sgpr_private_segment_size 0
		.amdhsa_wavefront_size32 1
		.amdhsa_uses_dynamic_stack 0
		.amdhsa_enable_private_segment 0
		.amdhsa_system_sgpr_workgroup_id_x 1
		.amdhsa_system_sgpr_workgroup_id_y 0
		.amdhsa_system_sgpr_workgroup_id_z 0
		.amdhsa_system_sgpr_workgroup_info 0
		.amdhsa_system_vgpr_workitem_id 0
		.amdhsa_next_free_vgpr 1
		.amdhsa_next_free_sgpr 1
		.amdhsa_named_barrier_count 0
		.amdhsa_reserve_vcc 0
		.amdhsa_float_round_mode_32 0
		.amdhsa_float_round_mode_16_64 0
		.amdhsa_float_denorm_mode_32 3
		.amdhsa_float_denorm_mode_16_64 3
		.amdhsa_fp16_overflow 0
		.amdhsa_memory_ordered 1
		.amdhsa_forward_progress 1
		.amdhsa_inst_pref_size 1
		.amdhsa_round_robin_scheduling 0
		.amdhsa_exception_fp_ieee_invalid_op 0
		.amdhsa_exception_fp_denorm_src 0
		.amdhsa_exception_fp_ieee_div_zero 0
		.amdhsa_exception_fp_ieee_overflow 0
		.amdhsa_exception_fp_ieee_underflow 0
		.amdhsa_exception_fp_ieee_inexact 0
		.amdhsa_exception_int_div_zero 0
	.end_amdhsa_kernel
	.section	.text._Z11fill_kernelIaZ21hipblaslt_init_deviceIaEv8ABC_dims24hipblaslt_initializationbPT_mmmmmEUlmE5_EvS4_mmT0_,"axG",@progbits,_Z11fill_kernelIaZ21hipblaslt_init_deviceIaEv8ABC_dims24hipblaslt_initializationbPT_mmmmmEUlmE5_EvS4_mmT0_,comdat
.Lfunc_end105:
	.size	_Z11fill_kernelIaZ21hipblaslt_init_deviceIaEv8ABC_dims24hipblaslt_initializationbPT_mmmmmEUlmE5_EvS4_mmT0_, .Lfunc_end105-_Z11fill_kernelIaZ21hipblaslt_init_deviceIaEv8ABC_dims24hipblaslt_initializationbPT_mmmmmEUlmE5_EvS4_mmT0_
                                        ; -- End function
	.set _Z11fill_kernelIaZ21hipblaslt_init_deviceIaEv8ABC_dims24hipblaslt_initializationbPT_mmmmmEUlmE5_EvS4_mmT0_.num_vgpr, 0
	.set _Z11fill_kernelIaZ21hipblaslt_init_deviceIaEv8ABC_dims24hipblaslt_initializationbPT_mmmmmEUlmE5_EvS4_mmT0_.num_agpr, 0
	.set _Z11fill_kernelIaZ21hipblaslt_init_deviceIaEv8ABC_dims24hipblaslt_initializationbPT_mmmmmEUlmE5_EvS4_mmT0_.numbered_sgpr, 0
	.set _Z11fill_kernelIaZ21hipblaslt_init_deviceIaEv8ABC_dims24hipblaslt_initializationbPT_mmmmmEUlmE5_EvS4_mmT0_.num_named_barrier, 0
	.set _Z11fill_kernelIaZ21hipblaslt_init_deviceIaEv8ABC_dims24hipblaslt_initializationbPT_mmmmmEUlmE5_EvS4_mmT0_.private_seg_size, 0
	.set _Z11fill_kernelIaZ21hipblaslt_init_deviceIaEv8ABC_dims24hipblaslt_initializationbPT_mmmmmEUlmE5_EvS4_mmT0_.uses_vcc, 0
	.set _Z11fill_kernelIaZ21hipblaslt_init_deviceIaEv8ABC_dims24hipblaslt_initializationbPT_mmmmmEUlmE5_EvS4_mmT0_.uses_flat_scratch, 0
	.set _Z11fill_kernelIaZ21hipblaslt_init_deviceIaEv8ABC_dims24hipblaslt_initializationbPT_mmmmmEUlmE5_EvS4_mmT0_.has_dyn_sized_stack, 0
	.set _Z11fill_kernelIaZ21hipblaslt_init_deviceIaEv8ABC_dims24hipblaslt_initializationbPT_mmmmmEUlmE5_EvS4_mmT0_.has_recursion, 0
	.set _Z11fill_kernelIaZ21hipblaslt_init_deviceIaEv8ABC_dims24hipblaslt_initializationbPT_mmmmmEUlmE5_EvS4_mmT0_.has_indirect_call, 0
	.section	.AMDGPU.csdata,"",@progbits
; Kernel info:
; codeLenInByte = 4
; TotalNumSgprs: 0
; NumVgprs: 0
; ScratchSize: 0
; MemoryBound: 0
; FloatMode: 240
; IeeeMode: 1
; LDSByteSize: 0 bytes/workgroup (compile time only)
; SGPRBlocks: 0
; VGPRBlocks: 0
; NumSGPRsForWavesPerEU: 1
; NumVGPRsForWavesPerEU: 1
; NamedBarCnt: 0
; Occupancy: 16
; WaveLimiterHint : 0
; COMPUTE_PGM_RSRC2:SCRATCH_EN: 0
; COMPUTE_PGM_RSRC2:USER_SGPR: 2
; COMPUTE_PGM_RSRC2:TRAP_HANDLER: 0
; COMPUTE_PGM_RSRC2:TGID_X_EN: 1
; COMPUTE_PGM_RSRC2:TGID_Y_EN: 0
; COMPUTE_PGM_RSRC2:TGID_Z_EN: 0
; COMPUTE_PGM_RSRC2:TIDIG_COMP_CNT: 0
	.section	.text._Z11fill_kernelIaZ21hipblaslt_init_deviceIaEv8ABC_dims24hipblaslt_initializationbPT_mmmmmEUlmE6_EvS4_mmT0_,"axG",@progbits,_Z11fill_kernelIaZ21hipblaslt_init_deviceIaEv8ABC_dims24hipblaslt_initializationbPT_mmmmmEUlmE6_EvS4_mmT0_,comdat
	.protected	_Z11fill_kernelIaZ21hipblaslt_init_deviceIaEv8ABC_dims24hipblaslt_initializationbPT_mmmmmEUlmE6_EvS4_mmT0_ ; -- Begin function _Z11fill_kernelIaZ21hipblaslt_init_deviceIaEv8ABC_dims24hipblaslt_initializationbPT_mmmmmEUlmE6_EvS4_mmT0_
	.globl	_Z11fill_kernelIaZ21hipblaslt_init_deviceIaEv8ABC_dims24hipblaslt_initializationbPT_mmmmmEUlmE6_EvS4_mmT0_
	.p2align	8
	.type	_Z11fill_kernelIaZ21hipblaslt_init_deviceIaEv8ABC_dims24hipblaslt_initializationbPT_mmmmmEUlmE6_EvS4_mmT0_,@function
_Z11fill_kernelIaZ21hipblaslt_init_deviceIaEv8ABC_dims24hipblaslt_initializationbPT_mmmmmEUlmE6_EvS4_mmT0_: ; @_Z11fill_kernelIaZ21hipblaslt_init_deviceIaEv8ABC_dims24hipblaslt_initializationbPT_mmmmmEUlmE6_EvS4_mmT0_
; %bb.0:
	s_clause 0x1
	s_load_b32 s2, s[0:1], 0x2c
	s_load_b128 s[4:7], s[0:1], 0x0
	s_bfe_u32 s3, ttmp6, 0x4000c
	s_and_b32 s8, ttmp6, 15
	s_add_co_i32 s3, s3, 1
	s_getreg_b32 s9, hwreg(HW_REG_IB_STS2, 6, 4)
	s_mul_i32 s3, ttmp9, s3
	v_mov_b32_e32 v1, 0
	s_add_co_i32 s8, s8, s3
	s_wait_kmcnt 0x0
	s_and_b32 s2, s2, 0xffff
	s_cmp_eq_u32 s9, 0
	s_cselect_b32 s3, ttmp9, s8
	s_delay_alu instid0(SALU_CYCLE_1) | instskip(SKIP_1) | instid1(VALU_DEP_1)
	v_mad_u32 v0, s3, s2, v0
	s_mov_b32 s2, exec_lo
	v_cmpx_gt_u64_e64 s[6:7], v[0:1]
	s_cbranch_execz .LBB106_2
; %bb.1:
	s_load_b64 s[0:1], s[0:1], 0x10
	s_wait_kmcnt 0x0
	s_add_nc_u64 s[0:1], s[4:5], s[0:1]
	s_delay_alu instid0(SALU_CYCLE_1)
	v_add_nc_u64_e32 v[2:3], s[0:1], v[0:1]
	global_store_b8 v[2:3], v1, off
.LBB106_2:
	s_endpgm
	.section	.rodata,"a",@progbits
	.p2align	6, 0x0
	.amdhsa_kernel _Z11fill_kernelIaZ21hipblaslt_init_deviceIaEv8ABC_dims24hipblaslt_initializationbPT_mmmmmEUlmE6_EvS4_mmT0_
		.amdhsa_group_segment_fixed_size 0
		.amdhsa_private_segment_fixed_size 0
		.amdhsa_kernarg_size 288
		.amdhsa_user_sgpr_count 2
		.amdhsa_user_sgpr_dispatch_ptr 0
		.amdhsa_user_sgpr_queue_ptr 0
		.amdhsa_user_sgpr_kernarg_segment_ptr 1
		.amdhsa_user_sgpr_dispatch_id 0
		.amdhsa_user_sgpr_kernarg_preload_length 0
		.amdhsa_user_sgpr_kernarg_preload_offset 0
		.amdhsa_user_sgpr_private_segment_size 0
		.amdhsa_wavefront_size32 1
		.amdhsa_uses_dynamic_stack 0
		.amdhsa_enable_private_segment 0
		.amdhsa_system_sgpr_workgroup_id_x 1
		.amdhsa_system_sgpr_workgroup_id_y 0
		.amdhsa_system_sgpr_workgroup_id_z 0
		.amdhsa_system_sgpr_workgroup_info 0
		.amdhsa_system_vgpr_workitem_id 0
		.amdhsa_next_free_vgpr 4
		.amdhsa_next_free_sgpr 10
		.amdhsa_named_barrier_count 0
		.amdhsa_reserve_vcc 0
		.amdhsa_float_round_mode_32 0
		.amdhsa_float_round_mode_16_64 0
		.amdhsa_float_denorm_mode_32 3
		.amdhsa_float_denorm_mode_16_64 3
		.amdhsa_fp16_overflow 0
		.amdhsa_memory_ordered 1
		.amdhsa_forward_progress 1
		.amdhsa_inst_pref_size 2
		.amdhsa_round_robin_scheduling 0
		.amdhsa_exception_fp_ieee_invalid_op 0
		.amdhsa_exception_fp_denorm_src 0
		.amdhsa_exception_fp_ieee_div_zero 0
		.amdhsa_exception_fp_ieee_overflow 0
		.amdhsa_exception_fp_ieee_underflow 0
		.amdhsa_exception_fp_ieee_inexact 0
		.amdhsa_exception_int_div_zero 0
	.end_amdhsa_kernel
	.section	.text._Z11fill_kernelIaZ21hipblaslt_init_deviceIaEv8ABC_dims24hipblaslt_initializationbPT_mmmmmEUlmE6_EvS4_mmT0_,"axG",@progbits,_Z11fill_kernelIaZ21hipblaslt_init_deviceIaEv8ABC_dims24hipblaslt_initializationbPT_mmmmmEUlmE6_EvS4_mmT0_,comdat
.Lfunc_end106:
	.size	_Z11fill_kernelIaZ21hipblaslt_init_deviceIaEv8ABC_dims24hipblaslt_initializationbPT_mmmmmEUlmE6_EvS4_mmT0_, .Lfunc_end106-_Z11fill_kernelIaZ21hipblaslt_init_deviceIaEv8ABC_dims24hipblaslt_initializationbPT_mmmmmEUlmE6_EvS4_mmT0_
                                        ; -- End function
	.set _Z11fill_kernelIaZ21hipblaslt_init_deviceIaEv8ABC_dims24hipblaslt_initializationbPT_mmmmmEUlmE6_EvS4_mmT0_.num_vgpr, 4
	.set _Z11fill_kernelIaZ21hipblaslt_init_deviceIaEv8ABC_dims24hipblaslt_initializationbPT_mmmmmEUlmE6_EvS4_mmT0_.num_agpr, 0
	.set _Z11fill_kernelIaZ21hipblaslt_init_deviceIaEv8ABC_dims24hipblaslt_initializationbPT_mmmmmEUlmE6_EvS4_mmT0_.numbered_sgpr, 10
	.set _Z11fill_kernelIaZ21hipblaslt_init_deviceIaEv8ABC_dims24hipblaslt_initializationbPT_mmmmmEUlmE6_EvS4_mmT0_.num_named_barrier, 0
	.set _Z11fill_kernelIaZ21hipblaslt_init_deviceIaEv8ABC_dims24hipblaslt_initializationbPT_mmmmmEUlmE6_EvS4_mmT0_.private_seg_size, 0
	.set _Z11fill_kernelIaZ21hipblaslt_init_deviceIaEv8ABC_dims24hipblaslt_initializationbPT_mmmmmEUlmE6_EvS4_mmT0_.uses_vcc, 0
	.set _Z11fill_kernelIaZ21hipblaslt_init_deviceIaEv8ABC_dims24hipblaslt_initializationbPT_mmmmmEUlmE6_EvS4_mmT0_.uses_flat_scratch, 0
	.set _Z11fill_kernelIaZ21hipblaslt_init_deviceIaEv8ABC_dims24hipblaslt_initializationbPT_mmmmmEUlmE6_EvS4_mmT0_.has_dyn_sized_stack, 0
	.set _Z11fill_kernelIaZ21hipblaslt_init_deviceIaEv8ABC_dims24hipblaslt_initializationbPT_mmmmmEUlmE6_EvS4_mmT0_.has_recursion, 0
	.set _Z11fill_kernelIaZ21hipblaslt_init_deviceIaEv8ABC_dims24hipblaslt_initializationbPT_mmmmmEUlmE6_EvS4_mmT0_.has_indirect_call, 0
	.section	.AMDGPU.csdata,"",@progbits
; Kernel info:
; codeLenInByte = 140
; TotalNumSgprs: 10
; NumVgprs: 4
; ScratchSize: 0
; MemoryBound: 0
; FloatMode: 240
; IeeeMode: 1
; LDSByteSize: 0 bytes/workgroup (compile time only)
; SGPRBlocks: 0
; VGPRBlocks: 0
; NumSGPRsForWavesPerEU: 10
; NumVGPRsForWavesPerEU: 4
; NamedBarCnt: 0
; Occupancy: 16
; WaveLimiterHint : 0
; COMPUTE_PGM_RSRC2:SCRATCH_EN: 0
; COMPUTE_PGM_RSRC2:USER_SGPR: 2
; COMPUTE_PGM_RSRC2:TRAP_HANDLER: 0
; COMPUTE_PGM_RSRC2:TGID_X_EN: 1
; COMPUTE_PGM_RSRC2:TGID_Y_EN: 0
; COMPUTE_PGM_RSRC2:TGID_Z_EN: 0
; COMPUTE_PGM_RSRC2:TIDIG_COMP_CNT: 0
	.section	.text._Z11fill_kernelIaZ21hipblaslt_init_deviceIaEv8ABC_dims24hipblaslt_initializationbPT_mmmmmEUlmE7_EvS4_mmT0_,"axG",@progbits,_Z11fill_kernelIaZ21hipblaslt_init_deviceIaEv8ABC_dims24hipblaslt_initializationbPT_mmmmmEUlmE7_EvS4_mmT0_,comdat
	.protected	_Z11fill_kernelIaZ21hipblaslt_init_deviceIaEv8ABC_dims24hipblaslt_initializationbPT_mmmmmEUlmE7_EvS4_mmT0_ ; -- Begin function _Z11fill_kernelIaZ21hipblaslt_init_deviceIaEv8ABC_dims24hipblaslt_initializationbPT_mmmmmEUlmE7_EvS4_mmT0_
	.globl	_Z11fill_kernelIaZ21hipblaslt_init_deviceIaEv8ABC_dims24hipblaslt_initializationbPT_mmmmmEUlmE7_EvS4_mmT0_
	.p2align	8
	.type	_Z11fill_kernelIaZ21hipblaslt_init_deviceIaEv8ABC_dims24hipblaslt_initializationbPT_mmmmmEUlmE7_EvS4_mmT0_,@function
_Z11fill_kernelIaZ21hipblaslt_init_deviceIaEv8ABC_dims24hipblaslt_initializationbPT_mmmmmEUlmE7_EvS4_mmT0_: ; @_Z11fill_kernelIaZ21hipblaslt_init_deviceIaEv8ABC_dims24hipblaslt_initializationbPT_mmmmmEUlmE7_EvS4_mmT0_
; %bb.0:
	s_clause 0x1
	s_load_b32 s2, s[0:1], 0x2c
	s_load_b128 s[4:7], s[0:1], 0x0
	s_bfe_u32 s3, ttmp6, 0x4000c
	s_and_b32 s8, ttmp6, 15
	s_add_co_i32 s3, s3, 1
	s_getreg_b32 s9, hwreg(HW_REG_IB_STS2, 6, 4)
	s_mul_i32 s3, ttmp9, s3
	v_mov_b32_e32 v1, 0
	s_add_co_i32 s8, s8, s3
	s_wait_kmcnt 0x0
	s_and_b32 s2, s2, 0xffff
	s_cmp_eq_u32 s9, 0
	s_cselect_b32 s3, ttmp9, s8
	s_delay_alu instid0(SALU_CYCLE_1) | instskip(SKIP_1) | instid1(VALU_DEP_1)
	v_mad_u32 v0, s3, s2, v0
	s_mov_b32 s2, exec_lo
	v_cmpx_gt_u64_e64 s[6:7], v[0:1]
	s_cbranch_execz .LBB107_2
; %bb.1:
	s_load_b64 s[0:1], s[0:1], 0x10
	s_wait_kmcnt 0x0
	v_add_nc_u64_e32 v[0:1], s[0:1], v[0:1]
	s_mov_b32 s0, 0x19660d
	s_delay_alu instid0(VALU_DEP_1) | instid1(SALU_CYCLE_1)
	v_mad_nc_u64_u32 v[2:3], v0, s0, 0x3c6ef35f
	s_delay_alu instid0(VALU_DEP_1) | instskip(SKIP_1) | instid1(VALU_DEP_2)
	v_mad_u32 v3, 0x19660d, v1, v3
	v_add_nc_u64_e32 v[0:1], s[4:5], v[0:1]
	v_lshlrev_b64_e32 v[4:5], 13, v[2:3]
	s_delay_alu instid0(VALU_DEP_1) | instskip(NEXT) | instid1(VALU_DEP_2)
	v_xor_b32_e32 v3, v5, v3
	v_xor_b32_e32 v2, v4, v2
	s_delay_alu instid0(VALU_DEP_1) | instskip(NEXT) | instid1(VALU_DEP_1)
	v_lshrrev_b64 v[4:5], 17, v[2:3]
	v_xor_b32_e32 v3, v5, v3
	s_delay_alu instid0(VALU_DEP_2) | instskip(NEXT) | instid1(VALU_DEP_1)
	v_xor_b32_e32 v2, v4, v2
	v_lshlrev_b64_e32 v[4:5], 5, v[2:3]
	s_delay_alu instid0(VALU_DEP_1) | instskip(NEXT) | instid1(VALU_DEP_2)
	v_xor_b32_e32 v3, v5, v3
	v_xor_b32_e32 v2, v4, v2
	s_delay_alu instid0(VALU_DEP_1) | instskip(NEXT) | instid1(VALU_DEP_1)
	v_lshlrev_b64_e32 v[4:5], 13, v[2:3]
	v_xor_b32_e32 v3, v5, v3
	s_delay_alu instid0(VALU_DEP_2) | instskip(NEXT) | instid1(VALU_DEP_1)
	v_xor_b32_e32 v2, v4, v2
	v_lshrrev_b64 v[4:5], 17, v[2:3]
	s_delay_alu instid0(VALU_DEP_1) | instskip(NEXT) | instid1(VALU_DEP_2)
	v_xor_b32_e32 v3, v5, v3
	v_xor_b32_e32 v2, v4, v2
	s_delay_alu instid0(VALU_DEP_1) | instskip(NEXT) | instid1(VALU_DEP_1)
	v_lshlrev_b64_e32 v[4:5], 5, v[2:3]
	v_xor_b32_e32 v3, v5, v3
	s_delay_alu instid0(VALU_DEP_2) | instskip(NEXT) | instid1(VALU_DEP_1)
	v_xor_b32_e32 v2, v4, v2
	v_lshlrev_b64_e32 v[4:5], 13, v[2:3]
	s_delay_alu instid0(VALU_DEP_1) | instskip(NEXT) | instid1(VALU_DEP_2)
	v_xor_b32_e32 v3, v5, v3
	v_xor_b32_e32 v2, v4, v2
	s_delay_alu instid0(VALU_DEP_1) | instskip(NEXT) | instid1(VALU_DEP_1)
	v_alignbit_b32 v3, v3, v2, 17
	v_xor_b32_e32 v2, v3, v2
	s_delay_alu instid0(VALU_DEP_1) | instskip(NEXT) | instid1(VALU_DEP_1)
	v_lshlrev_b32_e32 v3, 5, v2
	v_xor_b32_e32 v2, v3, v2
	s_delay_alu instid0(VALU_DEP_1) | instskip(NEXT) | instid1(VALU_DEP_1)
	v_mul_hi_u32 v3, 0xcccccccd, v2
	v_lshrrev_b32_e32 v3, 3, v3
	s_delay_alu instid0(VALU_DEP_1) | instskip(NEXT) | instid1(VALU_DEP_1)
	v_mul_lo_u32 v3, v3, 10
	v_sub_nc_u32_e32 v2, v2, v3
	s_delay_alu instid0(VALU_DEP_1)
	v_add_nc_u16 v2, v2, 1
	global_store_b8 v[0:1], v2, off
.LBB107_2:
	s_endpgm
	.section	.rodata,"a",@progbits
	.p2align	6, 0x0
	.amdhsa_kernel _Z11fill_kernelIaZ21hipblaslt_init_deviceIaEv8ABC_dims24hipblaslt_initializationbPT_mmmmmEUlmE7_EvS4_mmT0_
		.amdhsa_group_segment_fixed_size 0
		.amdhsa_private_segment_fixed_size 0
		.amdhsa_kernarg_size 288
		.amdhsa_user_sgpr_count 2
		.amdhsa_user_sgpr_dispatch_ptr 0
		.amdhsa_user_sgpr_queue_ptr 0
		.amdhsa_user_sgpr_kernarg_segment_ptr 1
		.amdhsa_user_sgpr_dispatch_id 0
		.amdhsa_user_sgpr_kernarg_preload_length 0
		.amdhsa_user_sgpr_kernarg_preload_offset 0
		.amdhsa_user_sgpr_private_segment_size 0
		.amdhsa_wavefront_size32 1
		.amdhsa_uses_dynamic_stack 0
		.amdhsa_enable_private_segment 0
		.amdhsa_system_sgpr_workgroup_id_x 1
		.amdhsa_system_sgpr_workgroup_id_y 0
		.amdhsa_system_sgpr_workgroup_id_z 0
		.amdhsa_system_sgpr_workgroup_info 0
		.amdhsa_system_vgpr_workitem_id 0
		.amdhsa_next_free_vgpr 6
		.amdhsa_next_free_sgpr 10
		.amdhsa_named_barrier_count 0
		.amdhsa_reserve_vcc 0
		.amdhsa_float_round_mode_32 0
		.amdhsa_float_round_mode_16_64 0
		.amdhsa_float_denorm_mode_32 3
		.amdhsa_float_denorm_mode_16_64 3
		.amdhsa_fp16_overflow 0
		.amdhsa_memory_ordered 1
		.amdhsa_forward_progress 1
		.amdhsa_inst_pref_size 3
		.amdhsa_round_robin_scheduling 0
		.amdhsa_exception_fp_ieee_invalid_op 0
		.amdhsa_exception_fp_denorm_src 0
		.amdhsa_exception_fp_ieee_div_zero 0
		.amdhsa_exception_fp_ieee_overflow 0
		.amdhsa_exception_fp_ieee_underflow 0
		.amdhsa_exception_fp_ieee_inexact 0
		.amdhsa_exception_int_div_zero 0
	.end_amdhsa_kernel
	.section	.text._Z11fill_kernelIaZ21hipblaslt_init_deviceIaEv8ABC_dims24hipblaslt_initializationbPT_mmmmmEUlmE7_EvS4_mmT0_,"axG",@progbits,_Z11fill_kernelIaZ21hipblaslt_init_deviceIaEv8ABC_dims24hipblaslt_initializationbPT_mmmmmEUlmE7_EvS4_mmT0_,comdat
.Lfunc_end107:
	.size	_Z11fill_kernelIaZ21hipblaslt_init_deviceIaEv8ABC_dims24hipblaslt_initializationbPT_mmmmmEUlmE7_EvS4_mmT0_, .Lfunc_end107-_Z11fill_kernelIaZ21hipblaslt_init_deviceIaEv8ABC_dims24hipblaslt_initializationbPT_mmmmmEUlmE7_EvS4_mmT0_
                                        ; -- End function
	.set _Z11fill_kernelIaZ21hipblaslt_init_deviceIaEv8ABC_dims24hipblaslt_initializationbPT_mmmmmEUlmE7_EvS4_mmT0_.num_vgpr, 6
	.set _Z11fill_kernelIaZ21hipblaslt_init_deviceIaEv8ABC_dims24hipblaslt_initializationbPT_mmmmmEUlmE7_EvS4_mmT0_.num_agpr, 0
	.set _Z11fill_kernelIaZ21hipblaslt_init_deviceIaEv8ABC_dims24hipblaslt_initializationbPT_mmmmmEUlmE7_EvS4_mmT0_.numbered_sgpr, 10
	.set _Z11fill_kernelIaZ21hipblaslt_init_deviceIaEv8ABC_dims24hipblaslt_initializationbPT_mmmmmEUlmE7_EvS4_mmT0_.num_named_barrier, 0
	.set _Z11fill_kernelIaZ21hipblaslt_init_deviceIaEv8ABC_dims24hipblaslt_initializationbPT_mmmmmEUlmE7_EvS4_mmT0_.private_seg_size, 0
	.set _Z11fill_kernelIaZ21hipblaslt_init_deviceIaEv8ABC_dims24hipblaslt_initializationbPT_mmmmmEUlmE7_EvS4_mmT0_.uses_vcc, 0
	.set _Z11fill_kernelIaZ21hipblaslt_init_deviceIaEv8ABC_dims24hipblaslt_initializationbPT_mmmmmEUlmE7_EvS4_mmT0_.uses_flat_scratch, 0
	.set _Z11fill_kernelIaZ21hipblaslt_init_deviceIaEv8ABC_dims24hipblaslt_initializationbPT_mmmmmEUlmE7_EvS4_mmT0_.has_dyn_sized_stack, 0
	.set _Z11fill_kernelIaZ21hipblaslt_init_deviceIaEv8ABC_dims24hipblaslt_initializationbPT_mmmmmEUlmE7_EvS4_mmT0_.has_recursion, 0
	.set _Z11fill_kernelIaZ21hipblaslt_init_deviceIaEv8ABC_dims24hipblaslt_initializationbPT_mmmmmEUlmE7_EvS4_mmT0_.has_indirect_call, 0
	.section	.AMDGPU.csdata,"",@progbits
; Kernel info:
; codeLenInByte = 384
; TotalNumSgprs: 10
; NumVgprs: 6
; ScratchSize: 0
; MemoryBound: 0
; FloatMode: 240
; IeeeMode: 1
; LDSByteSize: 0 bytes/workgroup (compile time only)
; SGPRBlocks: 0
; VGPRBlocks: 0
; NumSGPRsForWavesPerEU: 10
; NumVGPRsForWavesPerEU: 6
; NamedBarCnt: 0
; Occupancy: 16
; WaveLimiterHint : 0
; COMPUTE_PGM_RSRC2:SCRATCH_EN: 0
; COMPUTE_PGM_RSRC2:USER_SGPR: 2
; COMPUTE_PGM_RSRC2:TRAP_HANDLER: 0
; COMPUTE_PGM_RSRC2:TGID_X_EN: 1
; COMPUTE_PGM_RSRC2:TGID_Y_EN: 0
; COMPUTE_PGM_RSRC2:TGID_Z_EN: 0
; COMPUTE_PGM_RSRC2:TIDIG_COMP_CNT: 0
	.section	.text._Z11fill_kernelIaZ21hipblaslt_init_deviceIaEv8ABC_dims24hipblaslt_initializationbPT_mmmmmEUlmE8_EvS4_mmT0_,"axG",@progbits,_Z11fill_kernelIaZ21hipblaslt_init_deviceIaEv8ABC_dims24hipblaslt_initializationbPT_mmmmmEUlmE8_EvS4_mmT0_,comdat
	.protected	_Z11fill_kernelIaZ21hipblaslt_init_deviceIaEv8ABC_dims24hipblaslt_initializationbPT_mmmmmEUlmE8_EvS4_mmT0_ ; -- Begin function _Z11fill_kernelIaZ21hipblaslt_init_deviceIaEv8ABC_dims24hipblaslt_initializationbPT_mmmmmEUlmE8_EvS4_mmT0_
	.globl	_Z11fill_kernelIaZ21hipblaslt_init_deviceIaEv8ABC_dims24hipblaslt_initializationbPT_mmmmmEUlmE8_EvS4_mmT0_
	.p2align	8
	.type	_Z11fill_kernelIaZ21hipblaslt_init_deviceIaEv8ABC_dims24hipblaslt_initializationbPT_mmmmmEUlmE8_EvS4_mmT0_,@function
_Z11fill_kernelIaZ21hipblaslt_init_deviceIaEv8ABC_dims24hipblaslt_initializationbPT_mmmmmEUlmE8_EvS4_mmT0_: ; @_Z11fill_kernelIaZ21hipblaslt_init_deviceIaEv8ABC_dims24hipblaslt_initializationbPT_mmmmmEUlmE8_EvS4_mmT0_
; %bb.0:
	s_clause 0x1
	s_load_b32 s2, s[0:1], 0x2c
	s_load_b128 s[4:7], s[0:1], 0x0
	s_bfe_u32 s3, ttmp6, 0x4000c
	s_and_b32 s8, ttmp6, 15
	s_add_co_i32 s3, s3, 1
	s_getreg_b32 s9, hwreg(HW_REG_IB_STS2, 6, 4)
	s_mul_i32 s3, ttmp9, s3
	v_mov_b32_e32 v1, 0
	s_add_co_i32 s8, s8, s3
	s_wait_kmcnt 0x0
	s_and_b32 s2, s2, 0xffff
	s_cmp_eq_u32 s9, 0
	s_cselect_b32 s3, ttmp9, s8
	s_delay_alu instid0(SALU_CYCLE_1) | instskip(SKIP_1) | instid1(VALU_DEP_1)
	v_mad_u32 v0, s3, s2, v0
	s_mov_b32 s2, exec_lo
	v_cmpx_gt_u64_e64 s[6:7], v[0:1]
	s_cbranch_execz .LBB108_2
; %bb.1:
	s_load_b64 s[0:1], s[0:1], 0x10
	s_wait_kmcnt 0x0
	s_add_nc_u64 s[0:1], s[4:5], s[0:1]
	s_delay_alu instid0(SALU_CYCLE_1)
	v_add_nc_u64_e32 v[2:3], s[0:1], v[0:1]
	global_store_b8 v[2:3], v1, off
.LBB108_2:
	s_endpgm
	.section	.rodata,"a",@progbits
	.p2align	6, 0x0
	.amdhsa_kernel _Z11fill_kernelIaZ21hipblaslt_init_deviceIaEv8ABC_dims24hipblaslt_initializationbPT_mmmmmEUlmE8_EvS4_mmT0_
		.amdhsa_group_segment_fixed_size 0
		.amdhsa_private_segment_fixed_size 0
		.amdhsa_kernarg_size 288
		.amdhsa_user_sgpr_count 2
		.amdhsa_user_sgpr_dispatch_ptr 0
		.amdhsa_user_sgpr_queue_ptr 0
		.amdhsa_user_sgpr_kernarg_segment_ptr 1
		.amdhsa_user_sgpr_dispatch_id 0
		.amdhsa_user_sgpr_kernarg_preload_length 0
		.amdhsa_user_sgpr_kernarg_preload_offset 0
		.amdhsa_user_sgpr_private_segment_size 0
		.amdhsa_wavefront_size32 1
		.amdhsa_uses_dynamic_stack 0
		.amdhsa_enable_private_segment 0
		.amdhsa_system_sgpr_workgroup_id_x 1
		.amdhsa_system_sgpr_workgroup_id_y 0
		.amdhsa_system_sgpr_workgroup_id_z 0
		.amdhsa_system_sgpr_workgroup_info 0
		.amdhsa_system_vgpr_workitem_id 0
		.amdhsa_next_free_vgpr 4
		.amdhsa_next_free_sgpr 10
		.amdhsa_named_barrier_count 0
		.amdhsa_reserve_vcc 0
		.amdhsa_float_round_mode_32 0
		.amdhsa_float_round_mode_16_64 0
		.amdhsa_float_denorm_mode_32 3
		.amdhsa_float_denorm_mode_16_64 3
		.amdhsa_fp16_overflow 0
		.amdhsa_memory_ordered 1
		.amdhsa_forward_progress 1
		.amdhsa_inst_pref_size 2
		.amdhsa_round_robin_scheduling 0
		.amdhsa_exception_fp_ieee_invalid_op 0
		.amdhsa_exception_fp_denorm_src 0
		.amdhsa_exception_fp_ieee_div_zero 0
		.amdhsa_exception_fp_ieee_overflow 0
		.amdhsa_exception_fp_ieee_underflow 0
		.amdhsa_exception_fp_ieee_inexact 0
		.amdhsa_exception_int_div_zero 0
	.end_amdhsa_kernel
	.section	.text._Z11fill_kernelIaZ21hipblaslt_init_deviceIaEv8ABC_dims24hipblaslt_initializationbPT_mmmmmEUlmE8_EvS4_mmT0_,"axG",@progbits,_Z11fill_kernelIaZ21hipblaslt_init_deviceIaEv8ABC_dims24hipblaslt_initializationbPT_mmmmmEUlmE8_EvS4_mmT0_,comdat
.Lfunc_end108:
	.size	_Z11fill_kernelIaZ21hipblaslt_init_deviceIaEv8ABC_dims24hipblaslt_initializationbPT_mmmmmEUlmE8_EvS4_mmT0_, .Lfunc_end108-_Z11fill_kernelIaZ21hipblaslt_init_deviceIaEv8ABC_dims24hipblaslt_initializationbPT_mmmmmEUlmE8_EvS4_mmT0_
                                        ; -- End function
	.set _Z11fill_kernelIaZ21hipblaslt_init_deviceIaEv8ABC_dims24hipblaslt_initializationbPT_mmmmmEUlmE8_EvS4_mmT0_.num_vgpr, 4
	.set _Z11fill_kernelIaZ21hipblaslt_init_deviceIaEv8ABC_dims24hipblaslt_initializationbPT_mmmmmEUlmE8_EvS4_mmT0_.num_agpr, 0
	.set _Z11fill_kernelIaZ21hipblaslt_init_deviceIaEv8ABC_dims24hipblaslt_initializationbPT_mmmmmEUlmE8_EvS4_mmT0_.numbered_sgpr, 10
	.set _Z11fill_kernelIaZ21hipblaslt_init_deviceIaEv8ABC_dims24hipblaslt_initializationbPT_mmmmmEUlmE8_EvS4_mmT0_.num_named_barrier, 0
	.set _Z11fill_kernelIaZ21hipblaslt_init_deviceIaEv8ABC_dims24hipblaslt_initializationbPT_mmmmmEUlmE8_EvS4_mmT0_.private_seg_size, 0
	.set _Z11fill_kernelIaZ21hipblaslt_init_deviceIaEv8ABC_dims24hipblaslt_initializationbPT_mmmmmEUlmE8_EvS4_mmT0_.uses_vcc, 0
	.set _Z11fill_kernelIaZ21hipblaslt_init_deviceIaEv8ABC_dims24hipblaslt_initializationbPT_mmmmmEUlmE8_EvS4_mmT0_.uses_flat_scratch, 0
	.set _Z11fill_kernelIaZ21hipblaslt_init_deviceIaEv8ABC_dims24hipblaslt_initializationbPT_mmmmmEUlmE8_EvS4_mmT0_.has_dyn_sized_stack, 0
	.set _Z11fill_kernelIaZ21hipblaslt_init_deviceIaEv8ABC_dims24hipblaslt_initializationbPT_mmmmmEUlmE8_EvS4_mmT0_.has_recursion, 0
	.set _Z11fill_kernelIaZ21hipblaslt_init_deviceIaEv8ABC_dims24hipblaslt_initializationbPT_mmmmmEUlmE8_EvS4_mmT0_.has_indirect_call, 0
	.section	.AMDGPU.csdata,"",@progbits
; Kernel info:
; codeLenInByte = 140
; TotalNumSgprs: 10
; NumVgprs: 4
; ScratchSize: 0
; MemoryBound: 0
; FloatMode: 240
; IeeeMode: 1
; LDSByteSize: 0 bytes/workgroup (compile time only)
; SGPRBlocks: 0
; VGPRBlocks: 0
; NumSGPRsForWavesPerEU: 10
; NumVGPRsForWavesPerEU: 4
; NamedBarCnt: 0
; Occupancy: 16
; WaveLimiterHint : 0
; COMPUTE_PGM_RSRC2:SCRATCH_EN: 0
; COMPUTE_PGM_RSRC2:USER_SGPR: 2
; COMPUTE_PGM_RSRC2:TRAP_HANDLER: 0
; COMPUTE_PGM_RSRC2:TGID_X_EN: 1
; COMPUTE_PGM_RSRC2:TGID_Y_EN: 0
; COMPUTE_PGM_RSRC2:TGID_Z_EN: 0
; COMPUTE_PGM_RSRC2:TIDIG_COMP_CNT: 0
	.section	.text._Z11fill_kernelIaZ21hipblaslt_init_deviceIaEv8ABC_dims24hipblaslt_initializationbPT_mmmmmEUlmE9_EvS4_mmT0_,"axG",@progbits,_Z11fill_kernelIaZ21hipblaslt_init_deviceIaEv8ABC_dims24hipblaslt_initializationbPT_mmmmmEUlmE9_EvS4_mmT0_,comdat
	.protected	_Z11fill_kernelIaZ21hipblaslt_init_deviceIaEv8ABC_dims24hipblaslt_initializationbPT_mmmmmEUlmE9_EvS4_mmT0_ ; -- Begin function _Z11fill_kernelIaZ21hipblaslt_init_deviceIaEv8ABC_dims24hipblaslt_initializationbPT_mmmmmEUlmE9_EvS4_mmT0_
	.globl	_Z11fill_kernelIaZ21hipblaslt_init_deviceIaEv8ABC_dims24hipblaslt_initializationbPT_mmmmmEUlmE9_EvS4_mmT0_
	.p2align	8
	.type	_Z11fill_kernelIaZ21hipblaslt_init_deviceIaEv8ABC_dims24hipblaslt_initializationbPT_mmmmmEUlmE9_EvS4_mmT0_,@function
_Z11fill_kernelIaZ21hipblaslt_init_deviceIaEv8ABC_dims24hipblaslt_initializationbPT_mmmmmEUlmE9_EvS4_mmT0_: ; @_Z11fill_kernelIaZ21hipblaslt_init_deviceIaEv8ABC_dims24hipblaslt_initializationbPT_mmmmmEUlmE9_EvS4_mmT0_
; %bb.0:
	s_clause 0x1
	s_load_b32 s2, s[0:1], 0x2c
	s_load_b128 s[4:7], s[0:1], 0x0
	s_bfe_u32 s3, ttmp6, 0x4000c
	s_and_b32 s8, ttmp6, 15
	s_add_co_i32 s3, s3, 1
	s_getreg_b32 s9, hwreg(HW_REG_IB_STS2, 6, 4)
	s_mul_i32 s3, ttmp9, s3
	v_mov_b32_e32 v1, 0
	s_add_co_i32 s8, s8, s3
	s_wait_kmcnt 0x0
	s_and_b32 s2, s2, 0xffff
	s_cmp_eq_u32 s9, 0
	s_cselect_b32 s3, ttmp9, s8
	s_delay_alu instid0(SALU_CYCLE_1) | instskip(SKIP_1) | instid1(VALU_DEP_1)
	v_mad_u32 v0, s3, s2, v0
	s_mov_b32 s2, exec_lo
	v_cmpx_gt_u64_e64 s[6:7], v[0:1]
	s_cbranch_execz .LBB109_6
; %bb.1:
	s_load_b96 s[0:2], s[0:1], 0x10
	s_wait_kmcnt 0x0
	v_add_nc_u64_e32 v[0:1], s[0:1], v[0:1]
	s_mov_b32 s0, 0xb90ffb1d
	s_delay_alu instid0(VALU_DEP_1) | instskip(NEXT) | instid1(VALU_DEP_1)
	v_add_nc_u32_e32 v2, s2, v0
	v_mad_u32 v3, v2, s0, 0xdc6d3ef
	s_mov_b32 s0, 0x6ab9d291
	s_delay_alu instid0(VALU_DEP_1) | instskip(SKIP_3) | instid1(VALU_DEP_2)
	v_lshrrev_b32_e32 v5, 2, v3
	v_mad_u32 v4, 0x10dcd, v2, 1
	v_mad_u32 v6, v2, s0, 0xdfb3c992
	s_mov_b32 s0, exec_lo
	v_dual_lshlrev_b32 v7, 4, v4 :: v_dual_bitop2_b32 v3, v5, v3 bitop3:0x14
	s_delay_alu instid0(VALU_DEP_1) | instskip(NEXT) | instid1(VALU_DEP_1)
	v_dual_lshlrev_b32 v5, 1, v3 :: v_dual_lshrrev_b32 v8, 2, v6
	v_xor_b32_e32 v6, v8, v6
	s_delay_alu instid0(VALU_DEP_2) | instskip(NEXT) | instid1(VALU_DEP_1)
	v_xor_b32_e32 v5, v7, v5
	v_xor3_b32 v3, v5, v4, v3
	s_delay_alu instid0(VALU_DEP_1) | instskip(NEXT) | instid1(VALU_DEP_1)
	v_dual_lshlrev_b32 v5, 4, v3 :: v_dual_lshlrev_b32 v4, 1, v6
	v_xor_b32_e32 v5, v4, v5
	v_xor_b32_e32 v4, 0x587c5, v2
	s_delay_alu instid0(VALU_DEP_2) | instskip(NEXT) | instid1(VALU_DEP_1)
	v_xor3_b32 v2, v5, v6, v3
                                        ; implicit-def: $vgpr6
                                        ; implicit-def: $vgpr5
	v_add3_u32 v2, v4, v2, 0xb0f8a
	s_delay_alu instid0(VALU_DEP_1) | instskip(NEXT) | instid1(VALU_DEP_1)
	v_cvt_f32_u32_e32 v2, v2
	v_mul_f32_e32 v2, 0x2f800000, v2
	s_delay_alu instid0(VALU_DEP_1) | instskip(NEXT) | instid1(VALU_DEP_1)
	v_mul_f32_e32 v2, 0x40c90fdb, v2
	v_cmpx_ngt_f32_e32 0x48000000, v2
	s_xor_b32 s2, exec_lo, s0
	s_cbranch_execz .LBB109_3
; %bb.2:
	s_mov_b32 s0, 0x7fffff
	v_mov_b32_e32 v7, 0
	v_and_or_b32 v6, v2, s0, 0x800000
	s_mov_b64 s[0:1], 0xfe5163ab
	v_lshrrev_b32_e32 v5, 23, v2
	s_delay_alu instid0(VALU_DEP_2) | instskip(NEXT) | instid1(VALU_DEP_1)
	v_mul_u64_e32 v[8:9], s[0:1], v[6:7]
	v_dual_mov_b32 v10, v9 :: v_dual_mov_b32 v11, v7
	v_dual_mov_b32 v13, v7 :: v_dual_mov_b32 v15, v7
	;; [unrolled: 1-line block ×3, first 2 shown]
	s_delay_alu instid0(VALU_DEP_3) | instskip(NEXT) | instid1(VALU_DEP_1)
	v_mad_nc_u64_u32 v[10:11], 0x3c439041, v6, v[10:11]
	v_mov_b32_e32 v12, v11
	s_delay_alu instid0(VALU_DEP_1) | instskip(NEXT) | instid1(VALU_DEP_1)
	v_mad_nc_u64_u32 v[12:13], 0xdb629599, v6, v[12:13]
	v_mov_b32_e32 v14, v13
	s_delay_alu instid0(VALU_DEP_1) | instskip(NEXT) | instid1(VALU_DEP_1)
	;; [unrolled: 3-line block ×3, first 2 shown]
	v_mad_nc_u64_u32 v[16:17], 0xfc2757d1, v6, v[16:17]
	v_dual_mov_b32 v19, v7 :: v_dual_mov_b32 v18, v17
	s_delay_alu instid0(VALU_DEP_1) | instskip(NEXT) | instid1(VALU_DEP_1)
	v_mad_nc_u64_u32 v[18:19], 0x4e441529, v6, v[18:19]
	v_dual_mov_b32 v20, v19 :: v_dual_add_nc_u32 v5, 0xffffff88, v5
	s_delay_alu instid0(VALU_DEP_1) | instskip(NEXT) | instid1(VALU_DEP_2)
	v_cmp_lt_u32_e32 vcc_lo, 63, v5
	v_mad_nc_u64_u32 v[6:7], 0xa2f9836e, v6, v[20:21]
	v_cndmask_b32_e64 v9, 0, 0xffffffc0, vcc_lo
	v_dual_cndmask_b32 v11, v18, v14 :: v_dual_cndmask_b32 v8, v12, v8
	s_delay_alu instid0(VALU_DEP_2) | instskip(NEXT) | instid1(VALU_DEP_1)
	v_add_nc_u32_e32 v5, v9, v5
	v_cmp_lt_u32_e64 s0, 31, v5
	v_dual_cndmask_b32 v6, v6, v16 :: v_dual_cndmask_b32 v7, v7, v18
	s_delay_alu instid0(VALU_DEP_2) | instskip(NEXT) | instid1(VALU_DEP_1)
	v_cndmask_b32_e64 v9, 0, 0xffffffe0, s0
	v_add_nc_u32_e32 v5, v9, v5
	s_delay_alu instid0(VALU_DEP_1) | instskip(NEXT) | instid1(VALU_DEP_1)
	v_cmp_lt_u32_e64 s1, 31, v5
	v_cndmask_b32_e64 v9, 0, 0xffffffe0, s1
	s_delay_alu instid0(VALU_DEP_1) | instskip(SKIP_2) | instid1(VALU_DEP_3)
	v_dual_cndmask_b32 v13, v16, v12, vcc_lo :: v_dual_add_nc_u32 v5, v9, v5
	v_cndmask_b32_e32 v9, v14, v10, vcc_lo
	v_dual_cndmask_b32 v10, v6, v11, s0 :: v_dual_cndmask_b32 v6, v7, v6, s0
	v_cndmask_b32_e64 v7, v11, v13, s0
	s_delay_alu instid0(VALU_DEP_4) | instskip(NEXT) | instid1(VALU_DEP_4)
	v_sub_nc_u32_e32 v11, 32, v5
	v_cndmask_b32_e64 v13, v13, v9, s0
	v_cmp_eq_u32_e32 vcc_lo, 0, v5
	v_cndmask_b32_e64 v6, v6, v10, s1
	s_delay_alu instid0(VALU_DEP_3) | instskip(NEXT) | instid1(VALU_DEP_1)
	v_dual_cndmask_b32 v10, v10, v7, s1 :: v_dual_cndmask_b32 v7, v7, v13, s1
	v_alignbit_b32 v14, v6, v10, v11
	s_delay_alu instid0(VALU_DEP_2) | instskip(NEXT) | instid1(VALU_DEP_2)
	v_alignbit_b32 v12, v10, v7, v11
	v_dual_cndmask_b32 v5, v14, v6, vcc_lo :: v_dual_cndmask_b32 v6, v9, v8, s0
	s_delay_alu instid0(VALU_DEP_1) | instskip(NEXT) | instid1(VALU_DEP_1)
	v_bfe_u32 v9, v5, 29, 1
	v_dual_cndmask_b32 v8, v12, v10, vcc_lo :: v_dual_sub_nc_u32 v12, 0, v9
	s_delay_alu instid0(VALU_DEP_1) | instskip(NEXT) | instid1(VALU_DEP_1)
	v_alignbit_b32 v10, v5, v8, 30
	v_dual_cndmask_b32 v6, v13, v6, s1 :: v_dual_bitop2_b32 v10, v10, v12 bitop3:0x14
	s_delay_alu instid0(VALU_DEP_1) | instskip(NEXT) | instid1(VALU_DEP_1)
	v_alignbit_b32 v11, v7, v6, v11
	v_cndmask_b32_e32 v7, v11, v7, vcc_lo
	s_delay_alu instid0(VALU_DEP_3) | instskip(NEXT) | instid1(VALU_DEP_2)
	v_clz_i32_u32_e32 v11, v10
	v_alignbit_b32 v6, v7, v6, 30
	s_delay_alu instid0(VALU_DEP_2) | instskip(NEXT) | instid1(VALU_DEP_2)
	v_min_u32_e32 v11, 32, v11
	v_xor_b32_e32 v6, v6, v12
	v_alignbit_b32 v8, v8, v7, 30
	s_delay_alu instid0(VALU_DEP_1) | instskip(SKIP_1) | instid1(VALU_DEP_1)
	v_dual_lshlrev_b32 v13, 23, v11 :: v_dual_bitop2_b32 v7, v8, v12 bitop3:0x14
	v_dual_sub_nc_u32 v8, 31, v11 :: v_dual_lshrrev_b32 v12, 29, v5
	v_alignbit_b32 v10, v10, v7, v8
	v_alignbit_b32 v6, v7, v6, v8
	s_delay_alu instid0(VALU_DEP_3) | instskip(NEXT) | instid1(VALU_DEP_2)
	v_lshlrev_b32_e32 v7, 31, v12
	v_alignbit_b32 v8, v10, v6, 9
	s_delay_alu instid0(VALU_DEP_2) | instskip(NEXT) | instid1(VALU_DEP_2)
	v_dual_lshrrev_b32 v10, 9, v10 :: v_dual_bitop2_b32 v12, 0.5, v7 bitop3:0x54
	v_clz_i32_u32_e32 v14, v8
	s_delay_alu instid0(VALU_DEP_2) | instskip(SKIP_1) | instid1(VALU_DEP_3)
	v_sub_nc_u32_e32 v12, v12, v13
	v_or_b32_e32 v7, 0x33000000, v7
	v_min_u32_e32 v13, 32, v14
	s_delay_alu instid0(VALU_DEP_1) | instskip(NEXT) | instid1(VALU_DEP_4)
	v_add_lshl_u32 v11, v13, v11, 23
	v_or_b32_e32 v10, v10, v12
	v_not_b32_e32 v12, v13
	s_delay_alu instid0(VALU_DEP_2) | instskip(NEXT) | instid1(VALU_DEP_2)
	v_dual_mul_f32 v14, 0x3fc90fda, v10 :: v_dual_sub_nc_u32 v7, v7, v11
	v_alignbit_b32 v6, v8, v6, v12
	s_delay_alu instid0(VALU_DEP_2) | instskip(NEXT) | instid1(VALU_DEP_2)
	v_fma_f32 v8, 0x3fc90fda, v10, -v14
	v_lshrrev_b32_e32 v6, 9, v6
	s_delay_alu instid0(VALU_DEP_2) | instskip(NEXT) | instid1(VALU_DEP_2)
	v_fmamk_f32 v8, v10, 0x33a22168, v8
	v_or_b32_e32 v6, v7, v6
	s_delay_alu instid0(VALU_DEP_1) | instskip(NEXT) | instid1(VALU_DEP_1)
	v_fmac_f32_e32 v8, 0x3fc90fda, v6
	v_dual_add_f32 v5, v14, v8 :: v_dual_lshrrev_b32 v6, 30, v5
	s_delay_alu instid0(VALU_DEP_1)
	v_add_nc_u32_e32 v6, v9, v6
.LBB109_3:
	s_and_not1_saveexec_b32 s0, s2
; %bb.4:
	v_mul_f32_e32 v5, 0x3f22f983, v2
	s_delay_alu instid0(VALU_DEP_1) | instskip(NEXT) | instid1(VALU_DEP_1)
	v_rndne_f32_e32 v6, v5
	v_fmamk_f32 v5, v6, 0xbfc90fda, v2
	s_delay_alu instid0(VALU_DEP_1) | instskip(NEXT) | instid1(VALU_DEP_1)
	v_fmamk_f32 v5, v6, 0xb3a22168, v5
	v_fmamk_f32 v5, v6, 0xa7c234c4, v5
	v_cvt_i32_f32_e32 v6, v6
; %bb.5:
	s_or_b32 exec_lo, exec_lo, s0
	v_add3_u32 v3, v4, v3, 0x587c5
	s_mov_b32 s0, 0xb94c1982
	s_mov_b32 s1, 0x37d75334
	v_add_nc_u64_e32 v[0:1], s[4:5], v[0:1]
	s_delay_alu instid0(VALU_DEP_2) | instskip(NEXT) | instid1(VALU_DEP_1)
	v_cvt_f32_u32_e32 v3, v3
	v_mul_f32_e32 v3, 0x2f800000, v3
	s_delay_alu instid0(VALU_DEP_1) | instskip(SKIP_1) | instid1(VALU_DEP_1)
	v_cmp_ngt_f32_e32 vcc_lo, 0x2edbe6ff, v3
	v_cndmask_b32_e32 v3, 0x2edbe6ff, v3, vcc_lo
	v_cmp_gt_f32_e32 vcc_lo, 0x800000, v3
	v_cndmask_b32_e64 v4, 0, 32, vcc_lo
	v_cndmask_b32_e64 v7, 0, 0x41b17218, vcc_lo
	s_delay_alu instid0(VALU_DEP_2) | instskip(NEXT) | instid1(VALU_DEP_1)
	v_ldexp_f32 v3, v3, v4
	v_log_f32_e32 v3, v3
	v_nop
	s_delay_alu instid0(TRANS32_DEP_1) | instskip(SKIP_1) | instid1(VALU_DEP_2)
	v_mul_f32_e32 v4, 0x3f317217, v3
	v_cmp_gt_f32_e64 vcc_lo, 0x7f800000, |v3|
	v_fma_f32 v4, 0x3f317217, v3, -v4
	s_delay_alu instid0(VALU_DEP_1) | instskip(NEXT) | instid1(VALU_DEP_1)
	v_fmamk_f32 v4, v3, 0x3377d1cf, v4
	v_fmac_f32_e32 v4, 0x3f317217, v3
	s_delay_alu instid0(VALU_DEP_1) | instskip(NEXT) | instid1(VALU_DEP_1)
	v_cndmask_b32_e32 v3, v3, v4, vcc_lo
	v_dual_sub_f32 v3, v3, v7 :: v_dual_mul_f32 v7, v5, v5
	s_delay_alu instid0(VALU_DEP_1) | instskip(NEXT) | instid1(VALU_DEP_2)
	v_mul_f32_e32 v3, -2.0, v3
	v_fmaak_f32 v9, s0, v7, 0x3c0881c4
	v_fmaak_f32 v10, s1, v7, 0xbab64f3b
	s_delay_alu instid0(VALU_DEP_3) | instskip(SKIP_1) | instid1(VALU_DEP_2)
	v_mul_f32_e32 v4, 0x4f800000, v3
	v_cmp_gt_f32_e32 vcc_lo, 0xf800000, v3
	v_cndmask_b32_e32 v3, v3, v4, vcc_lo
	s_delay_alu instid0(VALU_DEP_1) | instskip(SKIP_1) | instid1(TRANS32_DEP_1)
	v_sqrt_f32_e32 v4, v3
	v_nop
	v_dual_add_nc_u32 v8, -1, v4 :: v_dual_add_nc_u32 v11, 1, v4
	s_delay_alu instid0(VALU_DEP_1) | instskip(NEXT) | instid1(VALU_DEP_1)
	v_dual_fma_f32 v12, -v8, v4, v3 :: v_dual_fma_f32 v13, -v11, v4, v3
	v_cmp_ge_f32_e64 s0, 0, v12
	s_delay_alu instid0(VALU_DEP_1) | instskip(NEXT) | instid1(VALU_DEP_3)
	v_cndmask_b32_e64 v4, v4, v8, s0
	v_cmp_lt_f32_e64 s0, 0, v13
	s_delay_alu instid0(VALU_DEP_1) | instskip(SKIP_1) | instid1(VALU_DEP_1)
	v_cndmask_b32_e64 v4, v4, v11, s0
	v_fmaak_f32 v9, v7, v9, 0xbe2aaa9d
	v_mul_f32_e32 v8, v7, v9
	s_delay_alu instid0(VALU_DEP_1) | instskip(NEXT) | instid1(VALU_DEP_4)
	v_fmac_f32_e32 v5, v5, v8
	v_mul_f32_e32 v8, 0x37800000, v4
	s_delay_alu instid0(VALU_DEP_1) | instskip(SKIP_1) | instid1(VALU_DEP_1)
	v_cndmask_b32_e32 v4, v4, v8, vcc_lo
	v_fmaak_f32 v10, v7, v10, 0x3d2aabf7
	v_fmaak_f32 v9, v7, v10, 0xbf000004
	v_dual_lshlrev_b32 v6, 30, v6 :: v_dual_bitop2_b32 v10, 1, v6 bitop3:0x40
	v_cmp_class_f32_e64 vcc_lo, v3, 0x260
	s_delay_alu instid0(VALU_DEP_3) | instskip(NEXT) | instid1(VALU_DEP_3)
	v_fma_f32 v7, v7, v9, 1.0
	v_cmp_eq_u32_e64 s0, 0, v10
	v_cndmask_b32_e32 v3, v4, v3, vcc_lo
	v_cmp_lg_f32_e32 vcc_lo, 0x7f800000, v2
	s_delay_alu instid0(VALU_DEP_3) | instskip(NEXT) | instid1(VALU_DEP_1)
	v_cndmask_b32_e64 v5, -v5, v7, s0
	v_bitop3_b32 v5, v6, v5, 0x80000000 bitop3:0x6c
	s_delay_alu instid0(VALU_DEP_1) | instskip(NEXT) | instid1(VALU_DEP_1)
	v_cndmask_b32_e32 v2, 0x7fc00000, v5, vcc_lo
	v_mul_f32_e32 v2, v3, v2
	s_delay_alu instid0(VALU_DEP_1)
	v_cvt_i32_f32_e32 v2, v2
	global_store_b8 v[0:1], v2, off
.LBB109_6:
	s_endpgm
	.section	.rodata,"a",@progbits
	.p2align	6, 0x0
	.amdhsa_kernel _Z11fill_kernelIaZ21hipblaslt_init_deviceIaEv8ABC_dims24hipblaslt_initializationbPT_mmmmmEUlmE9_EvS4_mmT0_
		.amdhsa_group_segment_fixed_size 0
		.amdhsa_private_segment_fixed_size 0
		.amdhsa_kernarg_size 288
		.amdhsa_user_sgpr_count 2
		.amdhsa_user_sgpr_dispatch_ptr 0
		.amdhsa_user_sgpr_queue_ptr 0
		.amdhsa_user_sgpr_kernarg_segment_ptr 1
		.amdhsa_user_sgpr_dispatch_id 0
		.amdhsa_user_sgpr_kernarg_preload_length 0
		.amdhsa_user_sgpr_kernarg_preload_offset 0
		.amdhsa_user_sgpr_private_segment_size 0
		.amdhsa_wavefront_size32 1
		.amdhsa_uses_dynamic_stack 0
		.amdhsa_enable_private_segment 0
		.amdhsa_system_sgpr_workgroup_id_x 1
		.amdhsa_system_sgpr_workgroup_id_y 0
		.amdhsa_system_sgpr_workgroup_id_z 0
		.amdhsa_system_sgpr_workgroup_info 0
		.amdhsa_system_vgpr_workitem_id 0
		.amdhsa_next_free_vgpr 22
		.amdhsa_next_free_sgpr 10
		.amdhsa_named_barrier_count 0
		.amdhsa_reserve_vcc 1
		.amdhsa_float_round_mode_32 0
		.amdhsa_float_round_mode_16_64 0
		.amdhsa_float_denorm_mode_32 3
		.amdhsa_float_denorm_mode_16_64 3
		.amdhsa_fp16_overflow 0
		.amdhsa_memory_ordered 1
		.amdhsa_forward_progress 1
		.amdhsa_inst_pref_size 13
		.amdhsa_round_robin_scheduling 0
		.amdhsa_exception_fp_ieee_invalid_op 0
		.amdhsa_exception_fp_denorm_src 0
		.amdhsa_exception_fp_ieee_div_zero 0
		.amdhsa_exception_fp_ieee_overflow 0
		.amdhsa_exception_fp_ieee_underflow 0
		.amdhsa_exception_fp_ieee_inexact 0
		.amdhsa_exception_int_div_zero 0
	.end_amdhsa_kernel
	.section	.text._Z11fill_kernelIaZ21hipblaslt_init_deviceIaEv8ABC_dims24hipblaslt_initializationbPT_mmmmmEUlmE9_EvS4_mmT0_,"axG",@progbits,_Z11fill_kernelIaZ21hipblaslt_init_deviceIaEv8ABC_dims24hipblaslt_initializationbPT_mmmmmEUlmE9_EvS4_mmT0_,comdat
.Lfunc_end109:
	.size	_Z11fill_kernelIaZ21hipblaslt_init_deviceIaEv8ABC_dims24hipblaslt_initializationbPT_mmmmmEUlmE9_EvS4_mmT0_, .Lfunc_end109-_Z11fill_kernelIaZ21hipblaslt_init_deviceIaEv8ABC_dims24hipblaslt_initializationbPT_mmmmmEUlmE9_EvS4_mmT0_
                                        ; -- End function
	.set _Z11fill_kernelIaZ21hipblaslt_init_deviceIaEv8ABC_dims24hipblaslt_initializationbPT_mmmmmEUlmE9_EvS4_mmT0_.num_vgpr, 22
	.set _Z11fill_kernelIaZ21hipblaslt_init_deviceIaEv8ABC_dims24hipblaslt_initializationbPT_mmmmmEUlmE9_EvS4_mmT0_.num_agpr, 0
	.set _Z11fill_kernelIaZ21hipblaslt_init_deviceIaEv8ABC_dims24hipblaslt_initializationbPT_mmmmmEUlmE9_EvS4_mmT0_.numbered_sgpr, 10
	.set _Z11fill_kernelIaZ21hipblaslt_init_deviceIaEv8ABC_dims24hipblaslt_initializationbPT_mmmmmEUlmE9_EvS4_mmT0_.num_named_barrier, 0
	.set _Z11fill_kernelIaZ21hipblaslt_init_deviceIaEv8ABC_dims24hipblaslt_initializationbPT_mmmmmEUlmE9_EvS4_mmT0_.private_seg_size, 0
	.set _Z11fill_kernelIaZ21hipblaslt_init_deviceIaEv8ABC_dims24hipblaslt_initializationbPT_mmmmmEUlmE9_EvS4_mmT0_.uses_vcc, 1
	.set _Z11fill_kernelIaZ21hipblaslt_init_deviceIaEv8ABC_dims24hipblaslt_initializationbPT_mmmmmEUlmE9_EvS4_mmT0_.uses_flat_scratch, 0
	.set _Z11fill_kernelIaZ21hipblaslt_init_deviceIaEv8ABC_dims24hipblaslt_initializationbPT_mmmmmEUlmE9_EvS4_mmT0_.has_dyn_sized_stack, 0
	.set _Z11fill_kernelIaZ21hipblaslt_init_deviceIaEv8ABC_dims24hipblaslt_initializationbPT_mmmmmEUlmE9_EvS4_mmT0_.has_recursion, 0
	.set _Z11fill_kernelIaZ21hipblaslt_init_deviceIaEv8ABC_dims24hipblaslt_initializationbPT_mmmmmEUlmE9_EvS4_mmT0_.has_indirect_call, 0
	.section	.AMDGPU.csdata,"",@progbits
; Kernel info:
; codeLenInByte = 1600
; TotalNumSgprs: 12
; NumVgprs: 22
; ScratchSize: 0
; MemoryBound: 0
; FloatMode: 240
; IeeeMode: 1
; LDSByteSize: 0 bytes/workgroup (compile time only)
; SGPRBlocks: 0
; VGPRBlocks: 1
; NumSGPRsForWavesPerEU: 12
; NumVGPRsForWavesPerEU: 22
; NamedBarCnt: 0
; Occupancy: 16
; WaveLimiterHint : 0
; COMPUTE_PGM_RSRC2:SCRATCH_EN: 0
; COMPUTE_PGM_RSRC2:USER_SGPR: 2
; COMPUTE_PGM_RSRC2:TRAP_HANDLER: 0
; COMPUTE_PGM_RSRC2:TGID_X_EN: 1
; COMPUTE_PGM_RSRC2:TGID_Y_EN: 0
; COMPUTE_PGM_RSRC2:TGID_Z_EN: 0
; COMPUTE_PGM_RSRC2:TIDIG_COMP_CNT: 0
	.section	.AMDGPU.gpr_maximums,"",@progbits
	.set amdgpu.max_num_vgpr, 0
	.set amdgpu.max_num_agpr, 0
	.set amdgpu.max_num_sgpr, 0
	.section	.AMDGPU.csdata,"",@progbits
	.type	__hip_cuid_95a0bde04c0fbf0a,@object ; @__hip_cuid_95a0bde04c0fbf0a
	.section	.bss,"aw",@nobits
	.globl	__hip_cuid_95a0bde04c0fbf0a
__hip_cuid_95a0bde04c0fbf0a:
	.byte	0                               ; 0x0
	.size	__hip_cuid_95a0bde04c0fbf0a, 1

	.ident	"AMD clang version 22.0.0git (https://github.com/RadeonOpenCompute/llvm-project roc-7.2.4 26084 f58b06dce1f9c15707c5f808fd002e18c2accf7e)"
	.section	".note.GNU-stack","",@progbits
	.addrsig
	.addrsig_sym __hip_cuid_95a0bde04c0fbf0a
	.amdgpu_metadata
---
amdhsa.kernels:
  - .args:
      - .address_space:  global
        .offset:         0
        .size:           8
        .value_kind:     global_buffer
      - .offset:         8
        .size:           8
        .value_kind:     by_value
      - .offset:         16
        .size:           8
        .value_kind:     by_value
      - .offset:         24
        .size:           400
        .value_kind:     by_value
      - .offset:         424
        .size:           4
        .value_kind:     hidden_block_count_x
      - .offset:         428
        .size:           4
        .value_kind:     hidden_block_count_y
      - .offset:         432
        .size:           4
        .value_kind:     hidden_block_count_z
      - .offset:         436
        .size:           2
        .value_kind:     hidden_group_size_x
      - .offset:         438
        .size:           2
        .value_kind:     hidden_group_size_y
      - .offset:         440
        .size:           2
        .value_kind:     hidden_group_size_z
      - .offset:         442
        .size:           2
        .value_kind:     hidden_remainder_x
      - .offset:         444
        .size:           2
        .value_kind:     hidden_remainder_y
      - .offset:         446
        .size:           2
        .value_kind:     hidden_remainder_z
      - .offset:         464
        .size:           8
        .value_kind:     hidden_global_offset_x
      - .offset:         472
        .size:           8
        .value_kind:     hidden_global_offset_y
      - .offset:         480
        .size:           8
        .value_kind:     hidden_global_offset_z
      - .offset:         488
        .size:           2
        .value_kind:     hidden_grid_dims
    .group_segment_fixed_size: 0
    .kernarg_segment_align: 8
    .kernarg_segment_size: 680
    .language:       OpenCL C
    .language_version:
      - 2
      - 0
    .max_flat_workgroup_size: 1024
    .name:           _Z11fill_kernelIfZ21hipblaslt_init_deviceIfEv8ABC_dims24hipblaslt_initializationbPT_mmmmmEUlmE_EvS4_mmT0_
    .private_segment_fixed_size: 0
    .sgpr_count:     10
    .sgpr_spill_count: 0
    .symbol:         _Z11fill_kernelIfZ21hipblaslt_init_deviceIfEv8ABC_dims24hipblaslt_initializationbPT_mmmmmEUlmE_EvS4_mmT0_.kd
    .uniform_work_group_size: 1
    .uses_dynamic_stack: false
    .vgpr_count:     6
    .vgpr_spill_count: 0
    .wavefront_size: 32
  - .args:
      - .address_space:  global
        .offset:         0
        .size:           8
        .value_kind:     global_buffer
      - .offset:         8
        .size:           8
        .value_kind:     by_value
      - .offset:         16
        .size:           8
        .value_kind:     by_value
      - .offset:         24
        .size:           1
        .value_kind:     by_value
      - .offset:         32
        .size:           4
        .value_kind:     hidden_block_count_x
      - .offset:         36
        .size:           4
        .value_kind:     hidden_block_count_y
      - .offset:         40
        .size:           4
        .value_kind:     hidden_block_count_z
      - .offset:         44
        .size:           2
        .value_kind:     hidden_group_size_x
      - .offset:         46
        .size:           2
        .value_kind:     hidden_group_size_y
      - .offset:         48
        .size:           2
        .value_kind:     hidden_group_size_z
      - .offset:         50
        .size:           2
        .value_kind:     hidden_remainder_x
      - .offset:         52
        .size:           2
        .value_kind:     hidden_remainder_y
      - .offset:         54
        .size:           2
        .value_kind:     hidden_remainder_z
      - .offset:         72
        .size:           8
        .value_kind:     hidden_global_offset_x
      - .offset:         80
        .size:           8
        .value_kind:     hidden_global_offset_y
      - .offset:         88
        .size:           8
        .value_kind:     hidden_global_offset_z
      - .offset:         96
        .size:           2
        .value_kind:     hidden_grid_dims
    .group_segment_fixed_size: 0
    .kernarg_segment_align: 8
    .kernarg_segment_size: 288
    .language:       OpenCL C
    .language_version:
      - 2
      - 0
    .max_flat_workgroup_size: 1024
    .name:           _Z11fill_kernelIfZ21hipblaslt_init_deviceIfEv8ABC_dims24hipblaslt_initializationbPT_mmmmmEUlmE0_EvS4_mmT0_
    .private_segment_fixed_size: 0
    .sgpr_count:     10
    .sgpr_spill_count: 0
    .symbol:         _Z11fill_kernelIfZ21hipblaslt_init_deviceIfEv8ABC_dims24hipblaslt_initializationbPT_mmmmmEUlmE0_EvS4_mmT0_.kd
    .uniform_work_group_size: 1
    .uses_dynamic_stack: false
    .vgpr_count:     6
    .vgpr_spill_count: 0
    .wavefront_size: 32
  - .args:
      - .address_space:  global
        .offset:         0
        .size:           8
        .value_kind:     global_buffer
      - .offset:         8
        .size:           8
        .value_kind:     by_value
      - .offset:         16
        .size:           8
        .value_kind:     by_value
      - .offset:         24
        .size:           16
        .value_kind:     by_value
      - .offset:         40
        .size:           4
        .value_kind:     hidden_block_count_x
      - .offset:         44
        .size:           4
        .value_kind:     hidden_block_count_y
      - .offset:         48
        .size:           4
        .value_kind:     hidden_block_count_z
      - .offset:         52
        .size:           2
        .value_kind:     hidden_group_size_x
      - .offset:         54
        .size:           2
        .value_kind:     hidden_group_size_y
      - .offset:         56
        .size:           2
        .value_kind:     hidden_group_size_z
      - .offset:         58
        .size:           2
        .value_kind:     hidden_remainder_x
      - .offset:         60
        .size:           2
        .value_kind:     hidden_remainder_y
      - .offset:         62
        .size:           2
        .value_kind:     hidden_remainder_z
      - .offset:         80
        .size:           8
        .value_kind:     hidden_global_offset_x
      - .offset:         88
        .size:           8
        .value_kind:     hidden_global_offset_y
      - .offset:         96
        .size:           8
        .value_kind:     hidden_global_offset_z
      - .offset:         104
        .size:           2
        .value_kind:     hidden_grid_dims
    .group_segment_fixed_size: 0
    .kernarg_segment_align: 8
    .kernarg_segment_size: 296
    .language:       OpenCL C
    .language_version:
      - 2
      - 0
    .max_flat_workgroup_size: 1024
    .name:           _Z11fill_kernelIfZ21hipblaslt_init_deviceIfEv8ABC_dims24hipblaslt_initializationbPT_mmmmmEUlmE1_EvS4_mmT0_
    .private_segment_fixed_size: 0
    .sgpr_count:     22
    .sgpr_spill_count: 0
    .symbol:         _Z11fill_kernelIfZ21hipblaslt_init_deviceIfEv8ABC_dims24hipblaslt_initializationbPT_mmmmmEUlmE1_EvS4_mmT0_.kd
    .uniform_work_group_size: 1
    .uses_dynamic_stack: false
    .vgpr_count:     14
    .vgpr_spill_count: 0
    .wavefront_size: 32
  - .args:
      - .address_space:  global
        .offset:         0
        .size:           8
        .value_kind:     global_buffer
      - .offset:         8
        .size:           8
        .value_kind:     by_value
      - .offset:         16
        .size:           8
        .value_kind:     by_value
      - .offset:         24
        .size:           32
        .value_kind:     by_value
      - .offset:         56
        .size:           4
        .value_kind:     hidden_block_count_x
      - .offset:         60
        .size:           4
        .value_kind:     hidden_block_count_y
      - .offset:         64
        .size:           4
        .value_kind:     hidden_block_count_z
      - .offset:         68
        .size:           2
        .value_kind:     hidden_group_size_x
      - .offset:         70
        .size:           2
        .value_kind:     hidden_group_size_y
      - .offset:         72
        .size:           2
        .value_kind:     hidden_group_size_z
      - .offset:         74
        .size:           2
        .value_kind:     hidden_remainder_x
      - .offset:         76
        .size:           2
        .value_kind:     hidden_remainder_y
      - .offset:         78
        .size:           2
        .value_kind:     hidden_remainder_z
      - .offset:         96
        .size:           8
        .value_kind:     hidden_global_offset_x
      - .offset:         104
        .size:           8
        .value_kind:     hidden_global_offset_y
      - .offset:         112
        .size:           8
        .value_kind:     hidden_global_offset_z
      - .offset:         120
        .size:           2
        .value_kind:     hidden_grid_dims
    .group_segment_fixed_size: 0
    .kernarg_segment_align: 8
    .kernarg_segment_size: 312
    .language:       OpenCL C
    .language_version:
      - 2
      - 0
    .max_flat_workgroup_size: 1024
    .name:           _Z11fill_kernelIfZ21hipblaslt_init_deviceIfEv8ABC_dims24hipblaslt_initializationbPT_mmmmmEUlmE2_EvS4_mmT0_
    .private_segment_fixed_size: 0
    .sgpr_count:     26
    .sgpr_spill_count: 0
    .symbol:         _Z11fill_kernelIfZ21hipblaslt_init_deviceIfEv8ABC_dims24hipblaslt_initializationbPT_mmmmmEUlmE2_EvS4_mmT0_.kd
    .uniform_work_group_size: 1
    .uses_dynamic_stack: false
    .vgpr_count:     34
    .vgpr_spill_count: 0
    .wavefront_size: 32
  - .args:
      - .address_space:  global
        .offset:         0
        .size:           8
        .value_kind:     global_buffer
      - .offset:         8
        .size:           8
        .value_kind:     by_value
      - .offset:         16
        .size:           8
        .value_kind:     by_value
      - .offset:         24
        .size:           32
        .value_kind:     by_value
      - .offset:         56
        .size:           4
        .value_kind:     hidden_block_count_x
      - .offset:         60
        .size:           4
        .value_kind:     hidden_block_count_y
      - .offset:         64
        .size:           4
        .value_kind:     hidden_block_count_z
      - .offset:         68
        .size:           2
        .value_kind:     hidden_group_size_x
      - .offset:         70
        .size:           2
        .value_kind:     hidden_group_size_y
      - .offset:         72
        .size:           2
        .value_kind:     hidden_group_size_z
      - .offset:         74
        .size:           2
        .value_kind:     hidden_remainder_x
      - .offset:         76
        .size:           2
        .value_kind:     hidden_remainder_y
      - .offset:         78
        .size:           2
        .value_kind:     hidden_remainder_z
      - .offset:         96
        .size:           8
        .value_kind:     hidden_global_offset_x
      - .offset:         104
        .size:           8
        .value_kind:     hidden_global_offset_y
      - .offset:         112
        .size:           8
        .value_kind:     hidden_global_offset_z
      - .offset:         120
        .size:           2
        .value_kind:     hidden_grid_dims
    .group_segment_fixed_size: 0
    .kernarg_segment_align: 8
    .kernarg_segment_size: 312
    .language:       OpenCL C
    .language_version:
      - 2
      - 0
    .max_flat_workgroup_size: 1024
    .name:           _Z11fill_kernelIfZ21hipblaslt_init_deviceIfEv8ABC_dims24hipblaslt_initializationbPT_mmmmmEUlmE3_EvS4_mmT0_
    .private_segment_fixed_size: 0
    .sgpr_count:     26
    .sgpr_spill_count: 0
    .symbol:         _Z11fill_kernelIfZ21hipblaslt_init_deviceIfEv8ABC_dims24hipblaslt_initializationbPT_mmmmmEUlmE3_EvS4_mmT0_.kd
    .uniform_work_group_size: 1
    .uses_dynamic_stack: false
    .vgpr_count:     34
    .vgpr_spill_count: 0
    .wavefront_size: 32
  - .args:
      - .address_space:  global
        .offset:         0
        .size:           8
        .value_kind:     global_buffer
      - .offset:         8
        .size:           8
        .value_kind:     by_value
      - .offset:         16
        .size:           8
        .value_kind:     by_value
      - .offset:         24
        .size:           1
        .value_kind:     by_value
      - .offset:         32
        .size:           4
        .value_kind:     hidden_block_count_x
      - .offset:         36
        .size:           4
        .value_kind:     hidden_block_count_y
      - .offset:         40
        .size:           4
        .value_kind:     hidden_block_count_z
      - .offset:         44
        .size:           2
        .value_kind:     hidden_group_size_x
      - .offset:         46
        .size:           2
        .value_kind:     hidden_group_size_y
      - .offset:         48
        .size:           2
        .value_kind:     hidden_group_size_z
      - .offset:         50
        .size:           2
        .value_kind:     hidden_remainder_x
      - .offset:         52
        .size:           2
        .value_kind:     hidden_remainder_y
      - .offset:         54
        .size:           2
        .value_kind:     hidden_remainder_z
      - .offset:         72
        .size:           8
        .value_kind:     hidden_global_offset_x
      - .offset:         80
        .size:           8
        .value_kind:     hidden_global_offset_y
      - .offset:         88
        .size:           8
        .value_kind:     hidden_global_offset_z
      - .offset:         96
        .size:           2
        .value_kind:     hidden_grid_dims
    .group_segment_fixed_size: 0
    .kernarg_segment_align: 8
    .kernarg_segment_size: 288
    .language:       OpenCL C
    .language_version:
      - 2
      - 0
    .max_flat_workgroup_size: 1024
    .name:           _Z11fill_kernelIfZ21hipblaslt_init_deviceIfEv8ABC_dims24hipblaslt_initializationbPT_mmmmmEUlmE4_EvS4_mmT0_
    .private_segment_fixed_size: 0
    .sgpr_count:     12
    .sgpr_spill_count: 0
    .symbol:         _Z11fill_kernelIfZ21hipblaslt_init_deviceIfEv8ABC_dims24hipblaslt_initializationbPT_mmmmmEUlmE4_EvS4_mmT0_.kd
    .uniform_work_group_size: 1
    .uses_dynamic_stack: false
    .vgpr_count:     12
    .vgpr_spill_count: 0
    .wavefront_size: 32
  - .args:
      - .address_space:  global
        .offset:         0
        .size:           8
        .value_kind:     global_buffer
      - .offset:         8
        .size:           8
        .value_kind:     by_value
      - .offset:         16
        .size:           8
        .value_kind:     by_value
      - .offset:         24
        .size:           1
        .value_kind:     by_value
      - .offset:         32
        .size:           4
        .value_kind:     hidden_block_count_x
      - .offset:         36
        .size:           4
        .value_kind:     hidden_block_count_y
      - .offset:         40
        .size:           4
        .value_kind:     hidden_block_count_z
      - .offset:         44
        .size:           2
        .value_kind:     hidden_group_size_x
      - .offset:         46
        .size:           2
        .value_kind:     hidden_group_size_y
      - .offset:         48
        .size:           2
        .value_kind:     hidden_group_size_z
      - .offset:         50
        .size:           2
        .value_kind:     hidden_remainder_x
      - .offset:         52
        .size:           2
        .value_kind:     hidden_remainder_y
      - .offset:         54
        .size:           2
        .value_kind:     hidden_remainder_z
      - .offset:         72
        .size:           8
        .value_kind:     hidden_global_offset_x
      - .offset:         80
        .size:           8
        .value_kind:     hidden_global_offset_y
      - .offset:         88
        .size:           8
        .value_kind:     hidden_global_offset_z
      - .offset:         96
        .size:           2
        .value_kind:     hidden_grid_dims
    .group_segment_fixed_size: 0
    .kernarg_segment_align: 8
    .kernarg_segment_size: 288
    .language:       OpenCL C
    .language_version:
      - 2
      - 0
    .max_flat_workgroup_size: 1024
    .name:           _Z11fill_kernelIfZ21hipblaslt_init_deviceIfEv8ABC_dims24hipblaslt_initializationbPT_mmmmmEUlmE5_EvS4_mmT0_
    .private_segment_fixed_size: 0
    .sgpr_count:     10
    .sgpr_spill_count: 0
    .symbol:         _Z11fill_kernelIfZ21hipblaslt_init_deviceIfEv8ABC_dims24hipblaslt_initializationbPT_mmmmmEUlmE5_EvS4_mmT0_.kd
    .uniform_work_group_size: 1
    .uses_dynamic_stack: false
    .vgpr_count:     3
    .vgpr_spill_count: 0
    .wavefront_size: 32
  - .args:
      - .address_space:  global
        .offset:         0
        .size:           8
        .value_kind:     global_buffer
      - .offset:         8
        .size:           8
        .value_kind:     by_value
      - .offset:         16
        .size:           8
        .value_kind:     by_value
      - .offset:         24
        .size:           1
        .value_kind:     by_value
      - .offset:         32
        .size:           4
        .value_kind:     hidden_block_count_x
      - .offset:         36
        .size:           4
        .value_kind:     hidden_block_count_y
      - .offset:         40
        .size:           4
        .value_kind:     hidden_block_count_z
      - .offset:         44
        .size:           2
        .value_kind:     hidden_group_size_x
      - .offset:         46
        .size:           2
        .value_kind:     hidden_group_size_y
      - .offset:         48
        .size:           2
        .value_kind:     hidden_group_size_z
      - .offset:         50
        .size:           2
        .value_kind:     hidden_remainder_x
      - .offset:         52
        .size:           2
        .value_kind:     hidden_remainder_y
      - .offset:         54
        .size:           2
        .value_kind:     hidden_remainder_z
      - .offset:         72
        .size:           8
        .value_kind:     hidden_global_offset_x
      - .offset:         80
        .size:           8
        .value_kind:     hidden_global_offset_y
      - .offset:         88
        .size:           8
        .value_kind:     hidden_global_offset_z
      - .offset:         96
        .size:           2
        .value_kind:     hidden_grid_dims
    .group_segment_fixed_size: 0
    .kernarg_segment_align: 8
    .kernarg_segment_size: 288
    .language:       OpenCL C
    .language_version:
      - 2
      - 0
    .max_flat_workgroup_size: 1024
    .name:           _Z11fill_kernelIfZ21hipblaslt_init_deviceIfEv8ABC_dims24hipblaslt_initializationbPT_mmmmmEUlmE6_EvS4_mmT0_
    .private_segment_fixed_size: 0
    .sgpr_count:     10
    .sgpr_spill_count: 0
    .symbol:         _Z11fill_kernelIfZ21hipblaslt_init_deviceIfEv8ABC_dims24hipblaslt_initializationbPT_mmmmmEUlmE6_EvS4_mmT0_.kd
    .uniform_work_group_size: 1
    .uses_dynamic_stack: false
    .vgpr_count:     3
    .vgpr_spill_count: 0
    .wavefront_size: 32
  - .args:
      - .address_space:  global
        .offset:         0
        .size:           8
        .value_kind:     global_buffer
      - .offset:         8
        .size:           8
        .value_kind:     by_value
      - .offset:         16
        .size:           8
        .value_kind:     by_value
      - .offset:         24
        .size:           1
        .value_kind:     by_value
      - .offset:         32
        .size:           4
        .value_kind:     hidden_block_count_x
      - .offset:         36
        .size:           4
        .value_kind:     hidden_block_count_y
      - .offset:         40
        .size:           4
        .value_kind:     hidden_block_count_z
      - .offset:         44
        .size:           2
        .value_kind:     hidden_group_size_x
      - .offset:         46
        .size:           2
        .value_kind:     hidden_group_size_y
      - .offset:         48
        .size:           2
        .value_kind:     hidden_group_size_z
      - .offset:         50
        .size:           2
        .value_kind:     hidden_remainder_x
      - .offset:         52
        .size:           2
        .value_kind:     hidden_remainder_y
      - .offset:         54
        .size:           2
        .value_kind:     hidden_remainder_z
      - .offset:         72
        .size:           8
        .value_kind:     hidden_global_offset_x
      - .offset:         80
        .size:           8
        .value_kind:     hidden_global_offset_y
      - .offset:         88
        .size:           8
        .value_kind:     hidden_global_offset_z
      - .offset:         96
        .size:           2
        .value_kind:     hidden_grid_dims
    .group_segment_fixed_size: 0
    .kernarg_segment_align: 8
    .kernarg_segment_size: 288
    .language:       OpenCL C
    .language_version:
      - 2
      - 0
    .max_flat_workgroup_size: 1024
    .name:           _Z11fill_kernelIfZ21hipblaslt_init_deviceIfEv8ABC_dims24hipblaslt_initializationbPT_mmmmmEUlmE7_EvS4_mmT0_
    .private_segment_fixed_size: 0
    .sgpr_count:     10
    .sgpr_spill_count: 0
    .symbol:         _Z11fill_kernelIfZ21hipblaslt_init_deviceIfEv8ABC_dims24hipblaslt_initializationbPT_mmmmmEUlmE7_EvS4_mmT0_.kd
    .uniform_work_group_size: 1
    .uses_dynamic_stack: false
    .vgpr_count:     6
    .vgpr_spill_count: 0
    .wavefront_size: 32
  - .args:
      - .address_space:  global
        .offset:         0
        .size:           8
        .value_kind:     global_buffer
      - .offset:         8
        .size:           8
        .value_kind:     by_value
      - .offset:         16
        .size:           8
        .value_kind:     by_value
      - .offset:         24
        .size:           1
        .value_kind:     by_value
      - .offset:         32
        .size:           4
        .value_kind:     hidden_block_count_x
      - .offset:         36
        .size:           4
        .value_kind:     hidden_block_count_y
      - .offset:         40
        .size:           4
        .value_kind:     hidden_block_count_z
      - .offset:         44
        .size:           2
        .value_kind:     hidden_group_size_x
      - .offset:         46
        .size:           2
        .value_kind:     hidden_group_size_y
      - .offset:         48
        .size:           2
        .value_kind:     hidden_group_size_z
      - .offset:         50
        .size:           2
        .value_kind:     hidden_remainder_x
      - .offset:         52
        .size:           2
        .value_kind:     hidden_remainder_y
      - .offset:         54
        .size:           2
        .value_kind:     hidden_remainder_z
      - .offset:         72
        .size:           8
        .value_kind:     hidden_global_offset_x
      - .offset:         80
        .size:           8
        .value_kind:     hidden_global_offset_y
      - .offset:         88
        .size:           8
        .value_kind:     hidden_global_offset_z
      - .offset:         96
        .size:           2
        .value_kind:     hidden_grid_dims
    .group_segment_fixed_size: 0
    .kernarg_segment_align: 8
    .kernarg_segment_size: 288
    .language:       OpenCL C
    .language_version:
      - 2
      - 0
    .max_flat_workgroup_size: 1024
    .name:           _Z11fill_kernelIfZ21hipblaslt_init_deviceIfEv8ABC_dims24hipblaslt_initializationbPT_mmmmmEUlmE8_EvS4_mmT0_
    .private_segment_fixed_size: 0
    .sgpr_count:     10
    .sgpr_spill_count: 0
    .symbol:         _Z11fill_kernelIfZ21hipblaslt_init_deviceIfEv8ABC_dims24hipblaslt_initializationbPT_mmmmmEUlmE8_EvS4_mmT0_.kd
    .uniform_work_group_size: 1
    .uses_dynamic_stack: false
    .vgpr_count:     4
    .vgpr_spill_count: 0
    .wavefront_size: 32
  - .args:
      - .address_space:  global
        .offset:         0
        .size:           8
        .value_kind:     global_buffer
      - .offset:         8
        .size:           8
        .value_kind:     by_value
      - .offset:         16
        .size:           8
        .value_kind:     by_value
      - .offset:         24
        .size:           4
        .value_kind:     by_value
      - .offset:         32
        .size:           4
        .value_kind:     hidden_block_count_x
      - .offset:         36
        .size:           4
        .value_kind:     hidden_block_count_y
      - .offset:         40
        .size:           4
        .value_kind:     hidden_block_count_z
      - .offset:         44
        .size:           2
        .value_kind:     hidden_group_size_x
      - .offset:         46
        .size:           2
        .value_kind:     hidden_group_size_y
      - .offset:         48
        .size:           2
        .value_kind:     hidden_group_size_z
      - .offset:         50
        .size:           2
        .value_kind:     hidden_remainder_x
      - .offset:         52
        .size:           2
        .value_kind:     hidden_remainder_y
      - .offset:         54
        .size:           2
        .value_kind:     hidden_remainder_z
      - .offset:         72
        .size:           8
        .value_kind:     hidden_global_offset_x
      - .offset:         80
        .size:           8
        .value_kind:     hidden_global_offset_y
      - .offset:         88
        .size:           8
        .value_kind:     hidden_global_offset_z
      - .offset:         96
        .size:           2
        .value_kind:     hidden_grid_dims
    .group_segment_fixed_size: 0
    .kernarg_segment_align: 8
    .kernarg_segment_size: 288
    .language:       OpenCL C
    .language_version:
      - 2
      - 0
    .max_flat_workgroup_size: 1024
    .name:           _Z11fill_kernelIfZ21hipblaslt_init_deviceIfEv8ABC_dims24hipblaslt_initializationbPT_mmmmmEUlmE9_EvS4_mmT0_
    .private_segment_fixed_size: 0
    .sgpr_count:     12
    .sgpr_spill_count: 0
    .symbol:         _Z11fill_kernelIfZ21hipblaslt_init_deviceIfEv8ABC_dims24hipblaslt_initializationbPT_mmmmmEUlmE9_EvS4_mmT0_.kd
    .uniform_work_group_size: 1
    .uses_dynamic_stack: false
    .vgpr_count:     22
    .vgpr_spill_count: 0
    .wavefront_size: 32
  - .args:
      - .address_space:  global
        .offset:         0
        .size:           8
        .value_kind:     global_buffer
      - .offset:         8
        .size:           8
        .value_kind:     by_value
      - .offset:         16
        .size:           8
        .value_kind:     by_value
      - .offset:         24
        .size:           800
        .value_kind:     by_value
      - .offset:         824
        .size:           4
        .value_kind:     hidden_block_count_x
      - .offset:         828
        .size:           4
        .value_kind:     hidden_block_count_y
      - .offset:         832
        .size:           4
        .value_kind:     hidden_block_count_z
      - .offset:         836
        .size:           2
        .value_kind:     hidden_group_size_x
      - .offset:         838
        .size:           2
        .value_kind:     hidden_group_size_y
      - .offset:         840
        .size:           2
        .value_kind:     hidden_group_size_z
      - .offset:         842
        .size:           2
        .value_kind:     hidden_remainder_x
      - .offset:         844
        .size:           2
        .value_kind:     hidden_remainder_y
      - .offset:         846
        .size:           2
        .value_kind:     hidden_remainder_z
      - .offset:         864
        .size:           8
        .value_kind:     hidden_global_offset_x
      - .offset:         872
        .size:           8
        .value_kind:     hidden_global_offset_y
      - .offset:         880
        .size:           8
        .value_kind:     hidden_global_offset_z
      - .offset:         888
        .size:           2
        .value_kind:     hidden_grid_dims
    .group_segment_fixed_size: 0
    .kernarg_segment_align: 8
    .kernarg_segment_size: 1080
    .language:       OpenCL C
    .language_version:
      - 2
      - 0
    .max_flat_workgroup_size: 1024
    .name:           _Z11fill_kernelIdZ21hipblaslt_init_deviceIdEv8ABC_dims24hipblaslt_initializationbPT_mmmmmEUlmE_EvS4_mmT0_
    .private_segment_fixed_size: 0
    .sgpr_count:     10
    .sgpr_spill_count: 0
    .symbol:         _Z11fill_kernelIdZ21hipblaslt_init_deviceIdEv8ABC_dims24hipblaslt_initializationbPT_mmmmmEUlmE_EvS4_mmT0_.kd
    .uniform_work_group_size: 1
    .uses_dynamic_stack: false
    .vgpr_count:     6
    .vgpr_spill_count: 0
    .wavefront_size: 32
  - .args:
      - .address_space:  global
        .offset:         0
        .size:           8
        .value_kind:     global_buffer
      - .offset:         8
        .size:           8
        .value_kind:     by_value
      - .offset:         16
        .size:           8
        .value_kind:     by_value
      - .offset:         24
        .size:           1
        .value_kind:     by_value
      - .offset:         32
        .size:           4
        .value_kind:     hidden_block_count_x
      - .offset:         36
        .size:           4
        .value_kind:     hidden_block_count_y
      - .offset:         40
        .size:           4
        .value_kind:     hidden_block_count_z
      - .offset:         44
        .size:           2
        .value_kind:     hidden_group_size_x
      - .offset:         46
        .size:           2
        .value_kind:     hidden_group_size_y
      - .offset:         48
        .size:           2
        .value_kind:     hidden_group_size_z
      - .offset:         50
        .size:           2
        .value_kind:     hidden_remainder_x
      - .offset:         52
        .size:           2
        .value_kind:     hidden_remainder_y
      - .offset:         54
        .size:           2
        .value_kind:     hidden_remainder_z
      - .offset:         72
        .size:           8
        .value_kind:     hidden_global_offset_x
      - .offset:         80
        .size:           8
        .value_kind:     hidden_global_offset_y
      - .offset:         88
        .size:           8
        .value_kind:     hidden_global_offset_z
      - .offset:         96
        .size:           2
        .value_kind:     hidden_grid_dims
    .group_segment_fixed_size: 0
    .kernarg_segment_align: 8
    .kernarg_segment_size: 288
    .language:       OpenCL C
    .language_version:
      - 2
      - 0
    .max_flat_workgroup_size: 1024
    .name:           _Z11fill_kernelIdZ21hipblaslt_init_deviceIdEv8ABC_dims24hipblaslt_initializationbPT_mmmmmEUlmE0_EvS4_mmT0_
    .private_segment_fixed_size: 0
    .sgpr_count:     10
    .sgpr_spill_count: 0
    .symbol:         _Z11fill_kernelIdZ21hipblaslt_init_deviceIdEv8ABC_dims24hipblaslt_initializationbPT_mmmmmEUlmE0_EvS4_mmT0_.kd
    .uniform_work_group_size: 1
    .uses_dynamic_stack: false
    .vgpr_count:     6
    .vgpr_spill_count: 0
    .wavefront_size: 32
  - .args:
      - .address_space:  global
        .offset:         0
        .size:           8
        .value_kind:     global_buffer
      - .offset:         8
        .size:           8
        .value_kind:     by_value
      - .offset:         16
        .size:           8
        .value_kind:     by_value
      - .offset:         24
        .size:           16
        .value_kind:     by_value
      - .offset:         40
        .size:           4
        .value_kind:     hidden_block_count_x
      - .offset:         44
        .size:           4
        .value_kind:     hidden_block_count_y
      - .offset:         48
        .size:           4
        .value_kind:     hidden_block_count_z
      - .offset:         52
        .size:           2
        .value_kind:     hidden_group_size_x
      - .offset:         54
        .size:           2
        .value_kind:     hidden_group_size_y
      - .offset:         56
        .size:           2
        .value_kind:     hidden_group_size_z
      - .offset:         58
        .size:           2
        .value_kind:     hidden_remainder_x
      - .offset:         60
        .size:           2
        .value_kind:     hidden_remainder_y
      - .offset:         62
        .size:           2
        .value_kind:     hidden_remainder_z
      - .offset:         80
        .size:           8
        .value_kind:     hidden_global_offset_x
      - .offset:         88
        .size:           8
        .value_kind:     hidden_global_offset_y
      - .offset:         96
        .size:           8
        .value_kind:     hidden_global_offset_z
      - .offset:         104
        .size:           2
        .value_kind:     hidden_grid_dims
    .group_segment_fixed_size: 0
    .kernarg_segment_align: 8
    .kernarg_segment_size: 296
    .language:       OpenCL C
    .language_version:
      - 2
      - 0
    .max_flat_workgroup_size: 1024
    .name:           _Z11fill_kernelIdZ21hipblaslt_init_deviceIdEv8ABC_dims24hipblaslt_initializationbPT_mmmmmEUlmE1_EvS4_mmT0_
    .private_segment_fixed_size: 0
    .sgpr_count:     22
    .sgpr_spill_count: 0
    .symbol:         _Z11fill_kernelIdZ21hipblaslt_init_deviceIdEv8ABC_dims24hipblaslt_initializationbPT_mmmmmEUlmE1_EvS4_mmT0_.kd
    .uniform_work_group_size: 1
    .uses_dynamic_stack: false
    .vgpr_count:     14
    .vgpr_spill_count: 0
    .wavefront_size: 32
  - .args:
      - .address_space:  global
        .offset:         0
        .size:           8
        .value_kind:     global_buffer
      - .offset:         8
        .size:           8
        .value_kind:     by_value
      - .offset:         16
        .size:           8
        .value_kind:     by_value
      - .offset:         24
        .size:           32
        .value_kind:     by_value
      - .offset:         56
        .size:           4
        .value_kind:     hidden_block_count_x
      - .offset:         60
        .size:           4
        .value_kind:     hidden_block_count_y
      - .offset:         64
        .size:           4
        .value_kind:     hidden_block_count_z
      - .offset:         68
        .size:           2
        .value_kind:     hidden_group_size_x
      - .offset:         70
        .size:           2
        .value_kind:     hidden_group_size_y
      - .offset:         72
        .size:           2
        .value_kind:     hidden_group_size_z
      - .offset:         74
        .size:           2
        .value_kind:     hidden_remainder_x
      - .offset:         76
        .size:           2
        .value_kind:     hidden_remainder_y
      - .offset:         78
        .size:           2
        .value_kind:     hidden_remainder_z
      - .offset:         96
        .size:           8
        .value_kind:     hidden_global_offset_x
      - .offset:         104
        .size:           8
        .value_kind:     hidden_global_offset_y
      - .offset:         112
        .size:           8
        .value_kind:     hidden_global_offset_z
      - .offset:         120
        .size:           2
        .value_kind:     hidden_grid_dims
    .group_segment_fixed_size: 0
    .kernarg_segment_align: 8
    .kernarg_segment_size: 312
    .language:       OpenCL C
    .language_version:
      - 2
      - 0
    .max_flat_workgroup_size: 1024
    .name:           _Z11fill_kernelIdZ21hipblaslt_init_deviceIdEv8ABC_dims24hipblaslt_initializationbPT_mmmmmEUlmE2_EvS4_mmT0_
    .private_segment_fixed_size: 0
    .sgpr_count:     26
    .sgpr_spill_count: 0
    .symbol:         _Z11fill_kernelIdZ21hipblaslt_init_deviceIdEv8ABC_dims24hipblaslt_initializationbPT_mmmmmEUlmE2_EvS4_mmT0_.kd
    .uniform_work_group_size: 1
    .uses_dynamic_stack: false
    .vgpr_count:     34
    .vgpr_spill_count: 0
    .wavefront_size: 32
  - .args:
      - .address_space:  global
        .offset:         0
        .size:           8
        .value_kind:     global_buffer
      - .offset:         8
        .size:           8
        .value_kind:     by_value
      - .offset:         16
        .size:           8
        .value_kind:     by_value
      - .offset:         24
        .size:           32
        .value_kind:     by_value
      - .offset:         56
        .size:           4
        .value_kind:     hidden_block_count_x
      - .offset:         60
        .size:           4
        .value_kind:     hidden_block_count_y
      - .offset:         64
        .size:           4
        .value_kind:     hidden_block_count_z
      - .offset:         68
        .size:           2
        .value_kind:     hidden_group_size_x
      - .offset:         70
        .size:           2
        .value_kind:     hidden_group_size_y
      - .offset:         72
        .size:           2
        .value_kind:     hidden_group_size_z
      - .offset:         74
        .size:           2
        .value_kind:     hidden_remainder_x
      - .offset:         76
        .size:           2
        .value_kind:     hidden_remainder_y
      - .offset:         78
        .size:           2
        .value_kind:     hidden_remainder_z
      - .offset:         96
        .size:           8
        .value_kind:     hidden_global_offset_x
      - .offset:         104
        .size:           8
        .value_kind:     hidden_global_offset_y
      - .offset:         112
        .size:           8
        .value_kind:     hidden_global_offset_z
      - .offset:         120
        .size:           2
        .value_kind:     hidden_grid_dims
    .group_segment_fixed_size: 0
    .kernarg_segment_align: 8
    .kernarg_segment_size: 312
    .language:       OpenCL C
    .language_version:
      - 2
      - 0
    .max_flat_workgroup_size: 1024
    .name:           _Z11fill_kernelIdZ21hipblaslt_init_deviceIdEv8ABC_dims24hipblaslt_initializationbPT_mmmmmEUlmE3_EvS4_mmT0_
    .private_segment_fixed_size: 0
    .sgpr_count:     26
    .sgpr_spill_count: 0
    .symbol:         _Z11fill_kernelIdZ21hipblaslt_init_deviceIdEv8ABC_dims24hipblaslt_initializationbPT_mmmmmEUlmE3_EvS4_mmT0_.kd
    .uniform_work_group_size: 1
    .uses_dynamic_stack: false
    .vgpr_count:     34
    .vgpr_spill_count: 0
    .wavefront_size: 32
  - .args:
      - .address_space:  global
        .offset:         0
        .size:           8
        .value_kind:     global_buffer
      - .offset:         8
        .size:           8
        .value_kind:     by_value
      - .offset:         16
        .size:           8
        .value_kind:     by_value
      - .offset:         24
        .size:           1
        .value_kind:     by_value
      - .offset:         32
        .size:           4
        .value_kind:     hidden_block_count_x
      - .offset:         36
        .size:           4
        .value_kind:     hidden_block_count_y
      - .offset:         40
        .size:           4
        .value_kind:     hidden_block_count_z
      - .offset:         44
        .size:           2
        .value_kind:     hidden_group_size_x
      - .offset:         46
        .size:           2
        .value_kind:     hidden_group_size_y
      - .offset:         48
        .size:           2
        .value_kind:     hidden_group_size_z
      - .offset:         50
        .size:           2
        .value_kind:     hidden_remainder_x
      - .offset:         52
        .size:           2
        .value_kind:     hidden_remainder_y
      - .offset:         54
        .size:           2
        .value_kind:     hidden_remainder_z
      - .offset:         72
        .size:           8
        .value_kind:     hidden_global_offset_x
      - .offset:         80
        .size:           8
        .value_kind:     hidden_global_offset_y
      - .offset:         88
        .size:           8
        .value_kind:     hidden_global_offset_z
      - .offset:         96
        .size:           2
        .value_kind:     hidden_grid_dims
    .group_segment_fixed_size: 0
    .kernarg_segment_align: 8
    .kernarg_segment_size: 288
    .language:       OpenCL C
    .language_version:
      - 2
      - 0
    .max_flat_workgroup_size: 1024
    .name:           _Z11fill_kernelIdZ21hipblaslt_init_deviceIdEv8ABC_dims24hipblaslt_initializationbPT_mmmmmEUlmE4_EvS4_mmT0_
    .private_segment_fixed_size: 0
    .sgpr_count:     12
    .sgpr_spill_count: 0
    .symbol:         _Z11fill_kernelIdZ21hipblaslt_init_deviceIdEv8ABC_dims24hipblaslt_initializationbPT_mmmmmEUlmE4_EvS4_mmT0_.kd
    .uniform_work_group_size: 1
    .uses_dynamic_stack: false
    .vgpr_count:     12
    .vgpr_spill_count: 0
    .wavefront_size: 32
  - .args:
      - .address_space:  global
        .offset:         0
        .size:           8
        .value_kind:     global_buffer
      - .offset:         8
        .size:           8
        .value_kind:     by_value
      - .offset:         16
        .size:           8
        .value_kind:     by_value
      - .offset:         24
        .size:           1
        .value_kind:     by_value
      - .offset:         32
        .size:           4
        .value_kind:     hidden_block_count_x
      - .offset:         36
        .size:           4
        .value_kind:     hidden_block_count_y
      - .offset:         40
        .size:           4
        .value_kind:     hidden_block_count_z
      - .offset:         44
        .size:           2
        .value_kind:     hidden_group_size_x
      - .offset:         46
        .size:           2
        .value_kind:     hidden_group_size_y
      - .offset:         48
        .size:           2
        .value_kind:     hidden_group_size_z
      - .offset:         50
        .size:           2
        .value_kind:     hidden_remainder_x
      - .offset:         52
        .size:           2
        .value_kind:     hidden_remainder_y
      - .offset:         54
        .size:           2
        .value_kind:     hidden_remainder_z
      - .offset:         72
        .size:           8
        .value_kind:     hidden_global_offset_x
      - .offset:         80
        .size:           8
        .value_kind:     hidden_global_offset_y
      - .offset:         88
        .size:           8
        .value_kind:     hidden_global_offset_z
      - .offset:         96
        .size:           2
        .value_kind:     hidden_grid_dims
    .group_segment_fixed_size: 0
    .kernarg_segment_align: 8
    .kernarg_segment_size: 288
    .language:       OpenCL C
    .language_version:
      - 2
      - 0
    .max_flat_workgroup_size: 1024
    .name:           _Z11fill_kernelIdZ21hipblaslt_init_deviceIdEv8ABC_dims24hipblaslt_initializationbPT_mmmmmEUlmE5_EvS4_mmT0_
    .private_segment_fixed_size: 0
    .sgpr_count:     10
    .sgpr_spill_count: 0
    .symbol:         _Z11fill_kernelIdZ21hipblaslt_init_deviceIdEv8ABC_dims24hipblaslt_initializationbPT_mmmmmEUlmE5_EvS4_mmT0_.kd
    .uniform_work_group_size: 1
    .uses_dynamic_stack: false
    .vgpr_count:     4
    .vgpr_spill_count: 0
    .wavefront_size: 32
  - .args:
      - .address_space:  global
        .offset:         0
        .size:           8
        .value_kind:     global_buffer
      - .offset:         8
        .size:           8
        .value_kind:     by_value
      - .offset:         16
        .size:           8
        .value_kind:     by_value
      - .offset:         24
        .size:           1
        .value_kind:     by_value
      - .offset:         32
        .size:           4
        .value_kind:     hidden_block_count_x
      - .offset:         36
        .size:           4
        .value_kind:     hidden_block_count_y
      - .offset:         40
        .size:           4
        .value_kind:     hidden_block_count_z
      - .offset:         44
        .size:           2
        .value_kind:     hidden_group_size_x
      - .offset:         46
        .size:           2
        .value_kind:     hidden_group_size_y
      - .offset:         48
        .size:           2
        .value_kind:     hidden_group_size_z
      - .offset:         50
        .size:           2
        .value_kind:     hidden_remainder_x
      - .offset:         52
        .size:           2
        .value_kind:     hidden_remainder_y
      - .offset:         54
        .size:           2
        .value_kind:     hidden_remainder_z
      - .offset:         72
        .size:           8
        .value_kind:     hidden_global_offset_x
      - .offset:         80
        .size:           8
        .value_kind:     hidden_global_offset_y
      - .offset:         88
        .size:           8
        .value_kind:     hidden_global_offset_z
      - .offset:         96
        .size:           2
        .value_kind:     hidden_grid_dims
    .group_segment_fixed_size: 0
    .kernarg_segment_align: 8
    .kernarg_segment_size: 288
    .language:       OpenCL C
    .language_version:
      - 2
      - 0
    .max_flat_workgroup_size: 1024
    .name:           _Z11fill_kernelIdZ21hipblaslt_init_deviceIdEv8ABC_dims24hipblaslt_initializationbPT_mmmmmEUlmE6_EvS4_mmT0_
    .private_segment_fixed_size: 0
    .sgpr_count:     10
    .sgpr_spill_count: 0
    .symbol:         _Z11fill_kernelIdZ21hipblaslt_init_deviceIdEv8ABC_dims24hipblaslt_initializationbPT_mmmmmEUlmE6_EvS4_mmT0_.kd
    .uniform_work_group_size: 1
    .uses_dynamic_stack: false
    .vgpr_count:     4
    .vgpr_spill_count: 0
    .wavefront_size: 32
  - .args:
      - .address_space:  global
        .offset:         0
        .size:           8
        .value_kind:     global_buffer
      - .offset:         8
        .size:           8
        .value_kind:     by_value
      - .offset:         16
        .size:           8
        .value_kind:     by_value
      - .offset:         24
        .size:           1
        .value_kind:     by_value
      - .offset:         32
        .size:           4
        .value_kind:     hidden_block_count_x
      - .offset:         36
        .size:           4
        .value_kind:     hidden_block_count_y
      - .offset:         40
        .size:           4
        .value_kind:     hidden_block_count_z
      - .offset:         44
        .size:           2
        .value_kind:     hidden_group_size_x
      - .offset:         46
        .size:           2
        .value_kind:     hidden_group_size_y
      - .offset:         48
        .size:           2
        .value_kind:     hidden_group_size_z
      - .offset:         50
        .size:           2
        .value_kind:     hidden_remainder_x
      - .offset:         52
        .size:           2
        .value_kind:     hidden_remainder_y
      - .offset:         54
        .size:           2
        .value_kind:     hidden_remainder_z
      - .offset:         72
        .size:           8
        .value_kind:     hidden_global_offset_x
      - .offset:         80
        .size:           8
        .value_kind:     hidden_global_offset_y
      - .offset:         88
        .size:           8
        .value_kind:     hidden_global_offset_z
      - .offset:         96
        .size:           2
        .value_kind:     hidden_grid_dims
    .group_segment_fixed_size: 0
    .kernarg_segment_align: 8
    .kernarg_segment_size: 288
    .language:       OpenCL C
    .language_version:
      - 2
      - 0
    .max_flat_workgroup_size: 1024
    .name:           _Z11fill_kernelIdZ21hipblaslt_init_deviceIdEv8ABC_dims24hipblaslt_initializationbPT_mmmmmEUlmE7_EvS4_mmT0_
    .private_segment_fixed_size: 0
    .sgpr_count:     10
    .sgpr_spill_count: 0
    .symbol:         _Z11fill_kernelIdZ21hipblaslt_init_deviceIdEv8ABC_dims24hipblaslt_initializationbPT_mmmmmEUlmE7_EvS4_mmT0_.kd
    .uniform_work_group_size: 1
    .uses_dynamic_stack: false
    .vgpr_count:     6
    .vgpr_spill_count: 0
    .wavefront_size: 32
  - .args:
      - .address_space:  global
        .offset:         0
        .size:           8
        .value_kind:     global_buffer
      - .offset:         8
        .size:           8
        .value_kind:     by_value
      - .offset:         16
        .size:           8
        .value_kind:     by_value
      - .offset:         24
        .size:           1
        .value_kind:     by_value
      - .offset:         32
        .size:           4
        .value_kind:     hidden_block_count_x
      - .offset:         36
        .size:           4
        .value_kind:     hidden_block_count_y
      - .offset:         40
        .size:           4
        .value_kind:     hidden_block_count_z
      - .offset:         44
        .size:           2
        .value_kind:     hidden_group_size_x
      - .offset:         46
        .size:           2
        .value_kind:     hidden_group_size_y
      - .offset:         48
        .size:           2
        .value_kind:     hidden_group_size_z
      - .offset:         50
        .size:           2
        .value_kind:     hidden_remainder_x
      - .offset:         52
        .size:           2
        .value_kind:     hidden_remainder_y
      - .offset:         54
        .size:           2
        .value_kind:     hidden_remainder_z
      - .offset:         72
        .size:           8
        .value_kind:     hidden_global_offset_x
      - .offset:         80
        .size:           8
        .value_kind:     hidden_global_offset_y
      - .offset:         88
        .size:           8
        .value_kind:     hidden_global_offset_z
      - .offset:         96
        .size:           2
        .value_kind:     hidden_grid_dims
    .group_segment_fixed_size: 0
    .kernarg_segment_align: 8
    .kernarg_segment_size: 288
    .language:       OpenCL C
    .language_version:
      - 2
      - 0
    .max_flat_workgroup_size: 1024
    .name:           _Z11fill_kernelIdZ21hipblaslt_init_deviceIdEv8ABC_dims24hipblaslt_initializationbPT_mmmmmEUlmE8_EvS4_mmT0_
    .private_segment_fixed_size: 0
    .sgpr_count:     10
    .sgpr_spill_count: 0
    .symbol:         _Z11fill_kernelIdZ21hipblaslt_init_deviceIdEv8ABC_dims24hipblaslt_initializationbPT_mmmmmEUlmE8_EvS4_mmT0_.kd
    .uniform_work_group_size: 1
    .uses_dynamic_stack: false
    .vgpr_count:     4
    .vgpr_spill_count: 0
    .wavefront_size: 32
  - .args:
      - .address_space:  global
        .offset:         0
        .size:           8
        .value_kind:     global_buffer
      - .offset:         8
        .size:           8
        .value_kind:     by_value
      - .offset:         16
        .size:           8
        .value_kind:     by_value
      - .offset:         24
        .size:           4
        .value_kind:     by_value
      - .offset:         32
        .size:           4
        .value_kind:     hidden_block_count_x
      - .offset:         36
        .size:           4
        .value_kind:     hidden_block_count_y
      - .offset:         40
        .size:           4
        .value_kind:     hidden_block_count_z
      - .offset:         44
        .size:           2
        .value_kind:     hidden_group_size_x
      - .offset:         46
        .size:           2
        .value_kind:     hidden_group_size_y
      - .offset:         48
        .size:           2
        .value_kind:     hidden_group_size_z
      - .offset:         50
        .size:           2
        .value_kind:     hidden_remainder_x
      - .offset:         52
        .size:           2
        .value_kind:     hidden_remainder_y
      - .offset:         54
        .size:           2
        .value_kind:     hidden_remainder_z
      - .offset:         72
        .size:           8
        .value_kind:     hidden_global_offset_x
      - .offset:         80
        .size:           8
        .value_kind:     hidden_global_offset_y
      - .offset:         88
        .size:           8
        .value_kind:     hidden_global_offset_z
      - .offset:         96
        .size:           2
        .value_kind:     hidden_grid_dims
    .group_segment_fixed_size: 0
    .kernarg_segment_align: 8
    .kernarg_segment_size: 288
    .language:       OpenCL C
    .language_version:
      - 2
      - 0
    .max_flat_workgroup_size: 1024
    .name:           _Z11fill_kernelIdZ21hipblaslt_init_deviceIdEv8ABC_dims24hipblaslt_initializationbPT_mmmmmEUlmE9_EvS4_mmT0_
    .private_segment_fixed_size: 0
    .sgpr_count:     12
    .sgpr_spill_count: 0
    .symbol:         _Z11fill_kernelIdZ21hipblaslt_init_deviceIdEv8ABC_dims24hipblaslt_initializationbPT_mmmmmEUlmE9_EvS4_mmT0_.kd
    .uniform_work_group_size: 1
    .uses_dynamic_stack: false
    .vgpr_count:     22
    .vgpr_spill_count: 0
    .wavefront_size: 32
  - .args:
      - .address_space:  global
        .offset:         0
        .size:           8
        .value_kind:     global_buffer
      - .offset:         8
        .size:           8
        .value_kind:     by_value
      - .offset:         16
        .size:           8
        .value_kind:     by_value
      - .offset:         24
        .size:           200
        .value_kind:     by_value
      - .offset:         224
        .size:           4
        .value_kind:     hidden_block_count_x
      - .offset:         228
        .size:           4
        .value_kind:     hidden_block_count_y
      - .offset:         232
        .size:           4
        .value_kind:     hidden_block_count_z
      - .offset:         236
        .size:           2
        .value_kind:     hidden_group_size_x
      - .offset:         238
        .size:           2
        .value_kind:     hidden_group_size_y
      - .offset:         240
        .size:           2
        .value_kind:     hidden_group_size_z
      - .offset:         242
        .size:           2
        .value_kind:     hidden_remainder_x
      - .offset:         244
        .size:           2
        .value_kind:     hidden_remainder_y
      - .offset:         246
        .size:           2
        .value_kind:     hidden_remainder_z
      - .offset:         264
        .size:           8
        .value_kind:     hidden_global_offset_x
      - .offset:         272
        .size:           8
        .value_kind:     hidden_global_offset_y
      - .offset:         280
        .size:           8
        .value_kind:     hidden_global_offset_z
      - .offset:         288
        .size:           2
        .value_kind:     hidden_grid_dims
    .group_segment_fixed_size: 0
    .kernarg_segment_align: 8
    .kernarg_segment_size: 480
    .language:       OpenCL C
    .language_version:
      - 2
      - 0
    .max_flat_workgroup_size: 1024
    .name:           _Z11fill_kernelIDF16_Z21hipblaslt_init_deviceIDF16_Ev8ABC_dims24hipblaslt_initializationbPT_mmmmmEUlmE_EvS4_mmT0_
    .private_segment_fixed_size: 0
    .sgpr_count:     10
    .sgpr_spill_count: 0
    .symbol:         _Z11fill_kernelIDF16_Z21hipblaslt_init_deviceIDF16_Ev8ABC_dims24hipblaslt_initializationbPT_mmmmmEUlmE_EvS4_mmT0_.kd
    .uniform_work_group_size: 1
    .uses_dynamic_stack: false
    .vgpr_count:     6
    .vgpr_spill_count: 0
    .wavefront_size: 32
  - .args:
      - .address_space:  global
        .offset:         0
        .size:           8
        .value_kind:     global_buffer
      - .offset:         8
        .size:           8
        .value_kind:     by_value
      - .offset:         16
        .size:           8
        .value_kind:     by_value
      - .offset:         24
        .size:           1
        .value_kind:     by_value
      - .offset:         32
        .size:           4
        .value_kind:     hidden_block_count_x
      - .offset:         36
        .size:           4
        .value_kind:     hidden_block_count_y
      - .offset:         40
        .size:           4
        .value_kind:     hidden_block_count_z
      - .offset:         44
        .size:           2
        .value_kind:     hidden_group_size_x
      - .offset:         46
        .size:           2
        .value_kind:     hidden_group_size_y
      - .offset:         48
        .size:           2
        .value_kind:     hidden_group_size_z
      - .offset:         50
        .size:           2
        .value_kind:     hidden_remainder_x
      - .offset:         52
        .size:           2
        .value_kind:     hidden_remainder_y
      - .offset:         54
        .size:           2
        .value_kind:     hidden_remainder_z
      - .offset:         72
        .size:           8
        .value_kind:     hidden_global_offset_x
      - .offset:         80
        .size:           8
        .value_kind:     hidden_global_offset_y
      - .offset:         88
        .size:           8
        .value_kind:     hidden_global_offset_z
      - .offset:         96
        .size:           2
        .value_kind:     hidden_grid_dims
    .group_segment_fixed_size: 0
    .kernarg_segment_align: 8
    .kernarg_segment_size: 288
    .language:       OpenCL C
    .language_version:
      - 2
      - 0
    .max_flat_workgroup_size: 1024
    .name:           _Z11fill_kernelIDF16_Z21hipblaslt_init_deviceIDF16_Ev8ABC_dims24hipblaslt_initializationbPT_mmmmmEUlmE0_EvS4_mmT0_
    .private_segment_fixed_size: 0
    .sgpr_count:     10
    .sgpr_spill_count: 0
    .symbol:         _Z11fill_kernelIDF16_Z21hipblaslt_init_deviceIDF16_Ev8ABC_dims24hipblaslt_initializationbPT_mmmmmEUlmE0_EvS4_mmT0_.kd
    .uniform_work_group_size: 1
    .uses_dynamic_stack: false
    .vgpr_count:     6
    .vgpr_spill_count: 0
    .wavefront_size: 32
  - .args:
      - .address_space:  global
        .offset:         0
        .size:           8
        .value_kind:     global_buffer
      - .offset:         8
        .size:           8
        .value_kind:     by_value
      - .offset:         16
        .size:           8
        .value_kind:     by_value
      - .offset:         24
        .size:           16
        .value_kind:     by_value
      - .offset:         40
        .size:           4
        .value_kind:     hidden_block_count_x
      - .offset:         44
        .size:           4
        .value_kind:     hidden_block_count_y
      - .offset:         48
        .size:           4
        .value_kind:     hidden_block_count_z
      - .offset:         52
        .size:           2
        .value_kind:     hidden_group_size_x
      - .offset:         54
        .size:           2
        .value_kind:     hidden_group_size_y
      - .offset:         56
        .size:           2
        .value_kind:     hidden_group_size_z
      - .offset:         58
        .size:           2
        .value_kind:     hidden_remainder_x
      - .offset:         60
        .size:           2
        .value_kind:     hidden_remainder_y
      - .offset:         62
        .size:           2
        .value_kind:     hidden_remainder_z
      - .offset:         80
        .size:           8
        .value_kind:     hidden_global_offset_x
      - .offset:         88
        .size:           8
        .value_kind:     hidden_global_offset_y
      - .offset:         96
        .size:           8
        .value_kind:     hidden_global_offset_z
      - .offset:         104
        .size:           2
        .value_kind:     hidden_grid_dims
    .group_segment_fixed_size: 0
    .kernarg_segment_align: 8
    .kernarg_segment_size: 296
    .language:       OpenCL C
    .language_version:
      - 2
      - 0
    .max_flat_workgroup_size: 1024
    .name:           _Z11fill_kernelIDF16_Z21hipblaslt_init_deviceIDF16_Ev8ABC_dims24hipblaslt_initializationbPT_mmmmmEUlmE1_EvS4_mmT0_
    .private_segment_fixed_size: 0
    .sgpr_count:     22
    .sgpr_spill_count: 0
    .symbol:         _Z11fill_kernelIDF16_Z21hipblaslt_init_deviceIDF16_Ev8ABC_dims24hipblaslt_initializationbPT_mmmmmEUlmE1_EvS4_mmT0_.kd
    .uniform_work_group_size: 1
    .uses_dynamic_stack: false
    .vgpr_count:     14
    .vgpr_spill_count: 0
    .wavefront_size: 32
  - .args:
      - .address_space:  global
        .offset:         0
        .size:           8
        .value_kind:     global_buffer
      - .offset:         8
        .size:           8
        .value_kind:     by_value
      - .offset:         16
        .size:           8
        .value_kind:     by_value
      - .offset:         24
        .size:           32
        .value_kind:     by_value
      - .offset:         56
        .size:           4
        .value_kind:     hidden_block_count_x
      - .offset:         60
        .size:           4
        .value_kind:     hidden_block_count_y
      - .offset:         64
        .size:           4
        .value_kind:     hidden_block_count_z
      - .offset:         68
        .size:           2
        .value_kind:     hidden_group_size_x
      - .offset:         70
        .size:           2
        .value_kind:     hidden_group_size_y
      - .offset:         72
        .size:           2
        .value_kind:     hidden_group_size_z
      - .offset:         74
        .size:           2
        .value_kind:     hidden_remainder_x
      - .offset:         76
        .size:           2
        .value_kind:     hidden_remainder_y
      - .offset:         78
        .size:           2
        .value_kind:     hidden_remainder_z
      - .offset:         96
        .size:           8
        .value_kind:     hidden_global_offset_x
      - .offset:         104
        .size:           8
        .value_kind:     hidden_global_offset_y
      - .offset:         112
        .size:           8
        .value_kind:     hidden_global_offset_z
      - .offset:         120
        .size:           2
        .value_kind:     hidden_grid_dims
    .group_segment_fixed_size: 0
    .kernarg_segment_align: 8
    .kernarg_segment_size: 312
    .language:       OpenCL C
    .language_version:
      - 2
      - 0
    .max_flat_workgroup_size: 1024
    .name:           _Z11fill_kernelIDF16_Z21hipblaslt_init_deviceIDF16_Ev8ABC_dims24hipblaslt_initializationbPT_mmmmmEUlmE2_EvS4_mmT0_
    .private_segment_fixed_size: 0
    .sgpr_count:     26
    .sgpr_spill_count: 0
    .symbol:         _Z11fill_kernelIDF16_Z21hipblaslt_init_deviceIDF16_Ev8ABC_dims24hipblaslt_initializationbPT_mmmmmEUlmE2_EvS4_mmT0_.kd
    .uniform_work_group_size: 1
    .uses_dynamic_stack: false
    .vgpr_count:     34
    .vgpr_spill_count: 0
    .wavefront_size: 32
  - .args:
      - .address_space:  global
        .offset:         0
        .size:           8
        .value_kind:     global_buffer
      - .offset:         8
        .size:           8
        .value_kind:     by_value
      - .offset:         16
        .size:           8
        .value_kind:     by_value
      - .offset:         24
        .size:           32
        .value_kind:     by_value
      - .offset:         56
        .size:           4
        .value_kind:     hidden_block_count_x
      - .offset:         60
        .size:           4
        .value_kind:     hidden_block_count_y
      - .offset:         64
        .size:           4
        .value_kind:     hidden_block_count_z
      - .offset:         68
        .size:           2
        .value_kind:     hidden_group_size_x
      - .offset:         70
        .size:           2
        .value_kind:     hidden_group_size_y
      - .offset:         72
        .size:           2
        .value_kind:     hidden_group_size_z
      - .offset:         74
        .size:           2
        .value_kind:     hidden_remainder_x
      - .offset:         76
        .size:           2
        .value_kind:     hidden_remainder_y
      - .offset:         78
        .size:           2
        .value_kind:     hidden_remainder_z
      - .offset:         96
        .size:           8
        .value_kind:     hidden_global_offset_x
      - .offset:         104
        .size:           8
        .value_kind:     hidden_global_offset_y
      - .offset:         112
        .size:           8
        .value_kind:     hidden_global_offset_z
      - .offset:         120
        .size:           2
        .value_kind:     hidden_grid_dims
    .group_segment_fixed_size: 0
    .kernarg_segment_align: 8
    .kernarg_segment_size: 312
    .language:       OpenCL C
    .language_version:
      - 2
      - 0
    .max_flat_workgroup_size: 1024
    .name:           _Z11fill_kernelIDF16_Z21hipblaslt_init_deviceIDF16_Ev8ABC_dims24hipblaslt_initializationbPT_mmmmmEUlmE3_EvS4_mmT0_
    .private_segment_fixed_size: 0
    .sgpr_count:     26
    .sgpr_spill_count: 0
    .symbol:         _Z11fill_kernelIDF16_Z21hipblaslt_init_deviceIDF16_Ev8ABC_dims24hipblaslt_initializationbPT_mmmmmEUlmE3_EvS4_mmT0_.kd
    .uniform_work_group_size: 1
    .uses_dynamic_stack: false
    .vgpr_count:     34
    .vgpr_spill_count: 0
    .wavefront_size: 32
  - .args:
      - .address_space:  global
        .offset:         0
        .size:           8
        .value_kind:     global_buffer
      - .offset:         8
        .size:           8
        .value_kind:     by_value
      - .offset:         16
        .size:           8
        .value_kind:     by_value
      - .offset:         24
        .size:           1
        .value_kind:     by_value
      - .offset:         32
        .size:           4
        .value_kind:     hidden_block_count_x
      - .offset:         36
        .size:           4
        .value_kind:     hidden_block_count_y
      - .offset:         40
        .size:           4
        .value_kind:     hidden_block_count_z
      - .offset:         44
        .size:           2
        .value_kind:     hidden_group_size_x
      - .offset:         46
        .size:           2
        .value_kind:     hidden_group_size_y
      - .offset:         48
        .size:           2
        .value_kind:     hidden_group_size_z
      - .offset:         50
        .size:           2
        .value_kind:     hidden_remainder_x
      - .offset:         52
        .size:           2
        .value_kind:     hidden_remainder_y
      - .offset:         54
        .size:           2
        .value_kind:     hidden_remainder_z
      - .offset:         72
        .size:           8
        .value_kind:     hidden_global_offset_x
      - .offset:         80
        .size:           8
        .value_kind:     hidden_global_offset_y
      - .offset:         88
        .size:           8
        .value_kind:     hidden_global_offset_z
      - .offset:         96
        .size:           2
        .value_kind:     hidden_grid_dims
    .group_segment_fixed_size: 0
    .kernarg_segment_align: 8
    .kernarg_segment_size: 288
    .language:       OpenCL C
    .language_version:
      - 2
      - 0
    .max_flat_workgroup_size: 1024
    .name:           _Z11fill_kernelIDF16_Z21hipblaslt_init_deviceIDF16_Ev8ABC_dims24hipblaslt_initializationbPT_mmmmmEUlmE4_EvS4_mmT0_
    .private_segment_fixed_size: 0
    .sgpr_count:     12
    .sgpr_spill_count: 0
    .symbol:         _Z11fill_kernelIDF16_Z21hipblaslt_init_deviceIDF16_Ev8ABC_dims24hipblaslt_initializationbPT_mmmmmEUlmE4_EvS4_mmT0_.kd
    .uniform_work_group_size: 1
    .uses_dynamic_stack: false
    .vgpr_count:     12
    .vgpr_spill_count: 0
    .wavefront_size: 32
  - .args:
      - .address_space:  global
        .offset:         0
        .size:           8
        .value_kind:     global_buffer
      - .offset:         8
        .size:           8
        .value_kind:     by_value
      - .offset:         16
        .size:           8
        .value_kind:     by_value
      - .offset:         24
        .size:           1
        .value_kind:     by_value
      - .offset:         32
        .size:           4
        .value_kind:     hidden_block_count_x
      - .offset:         36
        .size:           4
        .value_kind:     hidden_block_count_y
      - .offset:         40
        .size:           4
        .value_kind:     hidden_block_count_z
      - .offset:         44
        .size:           2
        .value_kind:     hidden_group_size_x
      - .offset:         46
        .size:           2
        .value_kind:     hidden_group_size_y
      - .offset:         48
        .size:           2
        .value_kind:     hidden_group_size_z
      - .offset:         50
        .size:           2
        .value_kind:     hidden_remainder_x
      - .offset:         52
        .size:           2
        .value_kind:     hidden_remainder_y
      - .offset:         54
        .size:           2
        .value_kind:     hidden_remainder_z
      - .offset:         72
        .size:           8
        .value_kind:     hidden_global_offset_x
      - .offset:         80
        .size:           8
        .value_kind:     hidden_global_offset_y
      - .offset:         88
        .size:           8
        .value_kind:     hidden_global_offset_z
      - .offset:         96
        .size:           2
        .value_kind:     hidden_grid_dims
    .group_segment_fixed_size: 0
    .kernarg_segment_align: 8
    .kernarg_segment_size: 288
    .language:       OpenCL C
    .language_version:
      - 2
      - 0
    .max_flat_workgroup_size: 1024
    .name:           _Z11fill_kernelIDF16_Z21hipblaslt_init_deviceIDF16_Ev8ABC_dims24hipblaslt_initializationbPT_mmmmmEUlmE5_EvS4_mmT0_
    .private_segment_fixed_size: 0
    .sgpr_count:     10
    .sgpr_spill_count: 0
    .symbol:         _Z11fill_kernelIDF16_Z21hipblaslt_init_deviceIDF16_Ev8ABC_dims24hipblaslt_initializationbPT_mmmmmEUlmE5_EvS4_mmT0_.kd
    .uniform_work_group_size: 1
    .uses_dynamic_stack: false
    .vgpr_count:     3
    .vgpr_spill_count: 0
    .wavefront_size: 32
  - .args:
      - .address_space:  global
        .offset:         0
        .size:           8
        .value_kind:     global_buffer
      - .offset:         8
        .size:           8
        .value_kind:     by_value
      - .offset:         16
        .size:           8
        .value_kind:     by_value
      - .offset:         24
        .size:           1
        .value_kind:     by_value
      - .offset:         32
        .size:           4
        .value_kind:     hidden_block_count_x
      - .offset:         36
        .size:           4
        .value_kind:     hidden_block_count_y
      - .offset:         40
        .size:           4
        .value_kind:     hidden_block_count_z
      - .offset:         44
        .size:           2
        .value_kind:     hidden_group_size_x
      - .offset:         46
        .size:           2
        .value_kind:     hidden_group_size_y
      - .offset:         48
        .size:           2
        .value_kind:     hidden_group_size_z
      - .offset:         50
        .size:           2
        .value_kind:     hidden_remainder_x
      - .offset:         52
        .size:           2
        .value_kind:     hidden_remainder_y
      - .offset:         54
        .size:           2
        .value_kind:     hidden_remainder_z
      - .offset:         72
        .size:           8
        .value_kind:     hidden_global_offset_x
      - .offset:         80
        .size:           8
        .value_kind:     hidden_global_offset_y
      - .offset:         88
        .size:           8
        .value_kind:     hidden_global_offset_z
      - .offset:         96
        .size:           2
        .value_kind:     hidden_grid_dims
    .group_segment_fixed_size: 0
    .kernarg_segment_align: 8
    .kernarg_segment_size: 288
    .language:       OpenCL C
    .language_version:
      - 2
      - 0
    .max_flat_workgroup_size: 1024
    .name:           _Z11fill_kernelIDF16_Z21hipblaslt_init_deviceIDF16_Ev8ABC_dims24hipblaslt_initializationbPT_mmmmmEUlmE6_EvS4_mmT0_
    .private_segment_fixed_size: 0
    .sgpr_count:     10
    .sgpr_spill_count: 0
    .symbol:         _Z11fill_kernelIDF16_Z21hipblaslt_init_deviceIDF16_Ev8ABC_dims24hipblaslt_initializationbPT_mmmmmEUlmE6_EvS4_mmT0_.kd
    .uniform_work_group_size: 1
    .uses_dynamic_stack: false
    .vgpr_count:     3
    .vgpr_spill_count: 0
    .wavefront_size: 32
  - .args:
      - .address_space:  global
        .offset:         0
        .size:           8
        .value_kind:     global_buffer
      - .offset:         8
        .size:           8
        .value_kind:     by_value
      - .offset:         16
        .size:           8
        .value_kind:     by_value
      - .offset:         24
        .size:           1
        .value_kind:     by_value
      - .offset:         32
        .size:           4
        .value_kind:     hidden_block_count_x
      - .offset:         36
        .size:           4
        .value_kind:     hidden_block_count_y
      - .offset:         40
        .size:           4
        .value_kind:     hidden_block_count_z
      - .offset:         44
        .size:           2
        .value_kind:     hidden_group_size_x
      - .offset:         46
        .size:           2
        .value_kind:     hidden_group_size_y
      - .offset:         48
        .size:           2
        .value_kind:     hidden_group_size_z
      - .offset:         50
        .size:           2
        .value_kind:     hidden_remainder_x
      - .offset:         52
        .size:           2
        .value_kind:     hidden_remainder_y
      - .offset:         54
        .size:           2
        .value_kind:     hidden_remainder_z
      - .offset:         72
        .size:           8
        .value_kind:     hidden_global_offset_x
      - .offset:         80
        .size:           8
        .value_kind:     hidden_global_offset_y
      - .offset:         88
        .size:           8
        .value_kind:     hidden_global_offset_z
      - .offset:         96
        .size:           2
        .value_kind:     hidden_grid_dims
    .group_segment_fixed_size: 0
    .kernarg_segment_align: 8
    .kernarg_segment_size: 288
    .language:       OpenCL C
    .language_version:
      - 2
      - 0
    .max_flat_workgroup_size: 1024
    .name:           _Z11fill_kernelIDF16_Z21hipblaslt_init_deviceIDF16_Ev8ABC_dims24hipblaslt_initializationbPT_mmmmmEUlmE7_EvS4_mmT0_
    .private_segment_fixed_size: 0
    .sgpr_count:     10
    .sgpr_spill_count: 0
    .symbol:         _Z11fill_kernelIDF16_Z21hipblaslt_init_deviceIDF16_Ev8ABC_dims24hipblaslt_initializationbPT_mmmmmEUlmE7_EvS4_mmT0_.kd
    .uniform_work_group_size: 1
    .uses_dynamic_stack: false
    .vgpr_count:     6
    .vgpr_spill_count: 0
    .wavefront_size: 32
  - .args:
      - .address_space:  global
        .offset:         0
        .size:           8
        .value_kind:     global_buffer
      - .offset:         8
        .size:           8
        .value_kind:     by_value
      - .offset:         16
        .size:           8
        .value_kind:     by_value
      - .offset:         24
        .size:           1
        .value_kind:     by_value
      - .offset:         32
        .size:           4
        .value_kind:     hidden_block_count_x
      - .offset:         36
        .size:           4
        .value_kind:     hidden_block_count_y
      - .offset:         40
        .size:           4
        .value_kind:     hidden_block_count_z
      - .offset:         44
        .size:           2
        .value_kind:     hidden_group_size_x
      - .offset:         46
        .size:           2
        .value_kind:     hidden_group_size_y
      - .offset:         48
        .size:           2
        .value_kind:     hidden_group_size_z
      - .offset:         50
        .size:           2
        .value_kind:     hidden_remainder_x
      - .offset:         52
        .size:           2
        .value_kind:     hidden_remainder_y
      - .offset:         54
        .size:           2
        .value_kind:     hidden_remainder_z
      - .offset:         72
        .size:           8
        .value_kind:     hidden_global_offset_x
      - .offset:         80
        .size:           8
        .value_kind:     hidden_global_offset_y
      - .offset:         88
        .size:           8
        .value_kind:     hidden_global_offset_z
      - .offset:         96
        .size:           2
        .value_kind:     hidden_grid_dims
    .group_segment_fixed_size: 0
    .kernarg_segment_align: 8
    .kernarg_segment_size: 288
    .language:       OpenCL C
    .language_version:
      - 2
      - 0
    .max_flat_workgroup_size: 1024
    .name:           _Z11fill_kernelIDF16_Z21hipblaslt_init_deviceIDF16_Ev8ABC_dims24hipblaslt_initializationbPT_mmmmmEUlmE8_EvS4_mmT0_
    .private_segment_fixed_size: 0
    .sgpr_count:     10
    .sgpr_spill_count: 0
    .symbol:         _Z11fill_kernelIDF16_Z21hipblaslt_init_deviceIDF16_Ev8ABC_dims24hipblaslt_initializationbPT_mmmmmEUlmE8_EvS4_mmT0_.kd
    .uniform_work_group_size: 1
    .uses_dynamic_stack: false
    .vgpr_count:     4
    .vgpr_spill_count: 0
    .wavefront_size: 32
  - .args:
      - .address_space:  global
        .offset:         0
        .size:           8
        .value_kind:     global_buffer
      - .offset:         8
        .size:           8
        .value_kind:     by_value
      - .offset:         16
        .size:           8
        .value_kind:     by_value
      - .offset:         24
        .size:           4
        .value_kind:     by_value
      - .offset:         32
        .size:           4
        .value_kind:     hidden_block_count_x
      - .offset:         36
        .size:           4
        .value_kind:     hidden_block_count_y
      - .offset:         40
        .size:           4
        .value_kind:     hidden_block_count_z
      - .offset:         44
        .size:           2
        .value_kind:     hidden_group_size_x
      - .offset:         46
        .size:           2
        .value_kind:     hidden_group_size_y
      - .offset:         48
        .size:           2
        .value_kind:     hidden_group_size_z
      - .offset:         50
        .size:           2
        .value_kind:     hidden_remainder_x
      - .offset:         52
        .size:           2
        .value_kind:     hidden_remainder_y
      - .offset:         54
        .size:           2
        .value_kind:     hidden_remainder_z
      - .offset:         72
        .size:           8
        .value_kind:     hidden_global_offset_x
      - .offset:         80
        .size:           8
        .value_kind:     hidden_global_offset_y
      - .offset:         88
        .size:           8
        .value_kind:     hidden_global_offset_z
      - .offset:         96
        .size:           2
        .value_kind:     hidden_grid_dims
    .group_segment_fixed_size: 0
    .kernarg_segment_align: 8
    .kernarg_segment_size: 288
    .language:       OpenCL C
    .language_version:
      - 2
      - 0
    .max_flat_workgroup_size: 1024
    .name:           _Z11fill_kernelIDF16_Z21hipblaslt_init_deviceIDF16_Ev8ABC_dims24hipblaslt_initializationbPT_mmmmmEUlmE9_EvS4_mmT0_
    .private_segment_fixed_size: 0
    .sgpr_count:     12
    .sgpr_spill_count: 0
    .symbol:         _Z11fill_kernelIDF16_Z21hipblaslt_init_deviceIDF16_Ev8ABC_dims24hipblaslt_initializationbPT_mmmmmEUlmE9_EvS4_mmT0_.kd
    .uniform_work_group_size: 1
    .uses_dynamic_stack: false
    .vgpr_count:     22
    .vgpr_spill_count: 0
    .wavefront_size: 32
  - .args:
      - .address_space:  global
        .offset:         0
        .size:           8
        .value_kind:     global_buffer
      - .offset:         8
        .size:           8
        .value_kind:     by_value
      - .offset:         16
        .size:           8
        .value_kind:     by_value
      - .offset:         24
        .size:           200
        .value_kind:     by_value
      - .offset:         224
        .size:           4
        .value_kind:     hidden_block_count_x
      - .offset:         228
        .size:           4
        .value_kind:     hidden_block_count_y
      - .offset:         232
        .size:           4
        .value_kind:     hidden_block_count_z
      - .offset:         236
        .size:           2
        .value_kind:     hidden_group_size_x
      - .offset:         238
        .size:           2
        .value_kind:     hidden_group_size_y
      - .offset:         240
        .size:           2
        .value_kind:     hidden_group_size_z
      - .offset:         242
        .size:           2
        .value_kind:     hidden_remainder_x
      - .offset:         244
        .size:           2
        .value_kind:     hidden_remainder_y
      - .offset:         246
        .size:           2
        .value_kind:     hidden_remainder_z
      - .offset:         264
        .size:           8
        .value_kind:     hidden_global_offset_x
      - .offset:         272
        .size:           8
        .value_kind:     hidden_global_offset_y
      - .offset:         280
        .size:           8
        .value_kind:     hidden_global_offset_z
      - .offset:         288
        .size:           2
        .value_kind:     hidden_grid_dims
    .group_segment_fixed_size: 0
    .kernarg_segment_align: 8
    .kernarg_segment_size: 480
    .language:       OpenCL C
    .language_version:
      - 2
      - 0
    .max_flat_workgroup_size: 1024
    .name:           _Z11fill_kernelI12hip_bfloat16Z21hipblaslt_init_deviceIS0_Ev8ABC_dims24hipblaslt_initializationbPT_mmmmmEUlmE_EvS5_mmT0_
    .private_segment_fixed_size: 0
    .sgpr_count:     10
    .sgpr_spill_count: 0
    .symbol:         _Z11fill_kernelI12hip_bfloat16Z21hipblaslt_init_deviceIS0_Ev8ABC_dims24hipblaslt_initializationbPT_mmmmmEUlmE_EvS5_mmT0_.kd
    .uniform_work_group_size: 1
    .uses_dynamic_stack: false
    .vgpr_count:     6
    .vgpr_spill_count: 0
    .wavefront_size: 32
  - .args:
      - .address_space:  global
        .offset:         0
        .size:           8
        .value_kind:     global_buffer
      - .offset:         8
        .size:           8
        .value_kind:     by_value
      - .offset:         16
        .size:           8
        .value_kind:     by_value
      - .offset:         24
        .size:           1
        .value_kind:     by_value
      - .offset:         32
        .size:           4
        .value_kind:     hidden_block_count_x
      - .offset:         36
        .size:           4
        .value_kind:     hidden_block_count_y
      - .offset:         40
        .size:           4
        .value_kind:     hidden_block_count_z
      - .offset:         44
        .size:           2
        .value_kind:     hidden_group_size_x
      - .offset:         46
        .size:           2
        .value_kind:     hidden_group_size_y
      - .offset:         48
        .size:           2
        .value_kind:     hidden_group_size_z
      - .offset:         50
        .size:           2
        .value_kind:     hidden_remainder_x
      - .offset:         52
        .size:           2
        .value_kind:     hidden_remainder_y
      - .offset:         54
        .size:           2
        .value_kind:     hidden_remainder_z
      - .offset:         72
        .size:           8
        .value_kind:     hidden_global_offset_x
      - .offset:         80
        .size:           8
        .value_kind:     hidden_global_offset_y
      - .offset:         88
        .size:           8
        .value_kind:     hidden_global_offset_z
      - .offset:         96
        .size:           2
        .value_kind:     hidden_grid_dims
    .group_segment_fixed_size: 0
    .kernarg_segment_align: 8
    .kernarg_segment_size: 288
    .language:       OpenCL C
    .language_version:
      - 2
      - 0
    .max_flat_workgroup_size: 1024
    .name:           _Z11fill_kernelI12hip_bfloat16Z21hipblaslt_init_deviceIS0_Ev8ABC_dims24hipblaslt_initializationbPT_mmmmmEUlmE0_EvS5_mmT0_
    .private_segment_fixed_size: 0
    .sgpr_count:     12
    .sgpr_spill_count: 0
    .symbol:         _Z11fill_kernelI12hip_bfloat16Z21hipblaslt_init_deviceIS0_Ev8ABC_dims24hipblaslt_initializationbPT_mmmmmEUlmE0_EvS5_mmT0_.kd
    .uniform_work_group_size: 1
    .uses_dynamic_stack: false
    .vgpr_count:     6
    .vgpr_spill_count: 0
    .wavefront_size: 32
  - .args:
      - .address_space:  global
        .offset:         0
        .size:           8
        .value_kind:     global_buffer
      - .offset:         8
        .size:           8
        .value_kind:     by_value
      - .offset:         16
        .size:           8
        .value_kind:     by_value
      - .offset:         24
        .size:           16
        .value_kind:     by_value
      - .offset:         40
        .size:           4
        .value_kind:     hidden_block_count_x
      - .offset:         44
        .size:           4
        .value_kind:     hidden_block_count_y
      - .offset:         48
        .size:           4
        .value_kind:     hidden_block_count_z
      - .offset:         52
        .size:           2
        .value_kind:     hidden_group_size_x
      - .offset:         54
        .size:           2
        .value_kind:     hidden_group_size_y
      - .offset:         56
        .size:           2
        .value_kind:     hidden_group_size_z
      - .offset:         58
        .size:           2
        .value_kind:     hidden_remainder_x
      - .offset:         60
        .size:           2
        .value_kind:     hidden_remainder_y
      - .offset:         62
        .size:           2
        .value_kind:     hidden_remainder_z
      - .offset:         80
        .size:           8
        .value_kind:     hidden_global_offset_x
      - .offset:         88
        .size:           8
        .value_kind:     hidden_global_offset_y
      - .offset:         96
        .size:           8
        .value_kind:     hidden_global_offset_z
      - .offset:         104
        .size:           2
        .value_kind:     hidden_grid_dims
    .group_segment_fixed_size: 0
    .kernarg_segment_align: 8
    .kernarg_segment_size: 296
    .language:       OpenCL C
    .language_version:
      - 2
      - 0
    .max_flat_workgroup_size: 1024
    .name:           _Z11fill_kernelI12hip_bfloat16Z21hipblaslt_init_deviceIS0_Ev8ABC_dims24hipblaslt_initializationbPT_mmmmmEUlmE1_EvS5_mmT0_
    .private_segment_fixed_size: 0
    .sgpr_count:     22
    .sgpr_spill_count: 0
    .symbol:         _Z11fill_kernelI12hip_bfloat16Z21hipblaslt_init_deviceIS0_Ev8ABC_dims24hipblaslt_initializationbPT_mmmmmEUlmE1_EvS5_mmT0_.kd
    .uniform_work_group_size: 1
    .uses_dynamic_stack: false
    .vgpr_count:     16
    .vgpr_spill_count: 0
    .wavefront_size: 32
  - .args:
      - .address_space:  global
        .offset:         0
        .size:           8
        .value_kind:     global_buffer
      - .offset:         8
        .size:           8
        .value_kind:     by_value
      - .offset:         16
        .size:           8
        .value_kind:     by_value
      - .offset:         24
        .size:           32
        .value_kind:     by_value
      - .offset:         56
        .size:           4
        .value_kind:     hidden_block_count_x
      - .offset:         60
        .size:           4
        .value_kind:     hidden_block_count_y
      - .offset:         64
        .size:           4
        .value_kind:     hidden_block_count_z
      - .offset:         68
        .size:           2
        .value_kind:     hidden_group_size_x
      - .offset:         70
        .size:           2
        .value_kind:     hidden_group_size_y
      - .offset:         72
        .size:           2
        .value_kind:     hidden_group_size_z
      - .offset:         74
        .size:           2
        .value_kind:     hidden_remainder_x
      - .offset:         76
        .size:           2
        .value_kind:     hidden_remainder_y
      - .offset:         78
        .size:           2
        .value_kind:     hidden_remainder_z
      - .offset:         96
        .size:           8
        .value_kind:     hidden_global_offset_x
      - .offset:         104
        .size:           8
        .value_kind:     hidden_global_offset_y
      - .offset:         112
        .size:           8
        .value_kind:     hidden_global_offset_z
      - .offset:         120
        .size:           2
        .value_kind:     hidden_grid_dims
    .group_segment_fixed_size: 0
    .kernarg_segment_align: 8
    .kernarg_segment_size: 312
    .language:       OpenCL C
    .language_version:
      - 2
      - 0
    .max_flat_workgroup_size: 1024
    .name:           _Z11fill_kernelI12hip_bfloat16Z21hipblaslt_init_deviceIS0_Ev8ABC_dims24hipblaslt_initializationbPT_mmmmmEUlmE2_EvS5_mmT0_
    .private_segment_fixed_size: 0
    .sgpr_count:     26
    .sgpr_spill_count: 0
    .symbol:         _Z11fill_kernelI12hip_bfloat16Z21hipblaslt_init_deviceIS0_Ev8ABC_dims24hipblaslt_initializationbPT_mmmmmEUlmE2_EvS5_mmT0_.kd
    .uniform_work_group_size: 1
    .uses_dynamic_stack: false
    .vgpr_count:     34
    .vgpr_spill_count: 0
    .wavefront_size: 32
  - .args:
      - .address_space:  global
        .offset:         0
        .size:           8
        .value_kind:     global_buffer
      - .offset:         8
        .size:           8
        .value_kind:     by_value
      - .offset:         16
        .size:           8
        .value_kind:     by_value
      - .offset:         24
        .size:           32
        .value_kind:     by_value
      - .offset:         56
        .size:           4
        .value_kind:     hidden_block_count_x
      - .offset:         60
        .size:           4
        .value_kind:     hidden_block_count_y
      - .offset:         64
        .size:           4
        .value_kind:     hidden_block_count_z
      - .offset:         68
        .size:           2
        .value_kind:     hidden_group_size_x
      - .offset:         70
        .size:           2
        .value_kind:     hidden_group_size_y
      - .offset:         72
        .size:           2
        .value_kind:     hidden_group_size_z
      - .offset:         74
        .size:           2
        .value_kind:     hidden_remainder_x
      - .offset:         76
        .size:           2
        .value_kind:     hidden_remainder_y
      - .offset:         78
        .size:           2
        .value_kind:     hidden_remainder_z
      - .offset:         96
        .size:           8
        .value_kind:     hidden_global_offset_x
      - .offset:         104
        .size:           8
        .value_kind:     hidden_global_offset_y
      - .offset:         112
        .size:           8
        .value_kind:     hidden_global_offset_z
      - .offset:         120
        .size:           2
        .value_kind:     hidden_grid_dims
    .group_segment_fixed_size: 0
    .kernarg_segment_align: 8
    .kernarg_segment_size: 312
    .language:       OpenCL C
    .language_version:
      - 2
      - 0
    .max_flat_workgroup_size: 1024
    .name:           _Z11fill_kernelI12hip_bfloat16Z21hipblaslt_init_deviceIS0_Ev8ABC_dims24hipblaslt_initializationbPT_mmmmmEUlmE3_EvS5_mmT0_
    .private_segment_fixed_size: 0
    .sgpr_count:     26
    .sgpr_spill_count: 0
    .symbol:         _Z11fill_kernelI12hip_bfloat16Z21hipblaslt_init_deviceIS0_Ev8ABC_dims24hipblaslt_initializationbPT_mmmmmEUlmE3_EvS5_mmT0_.kd
    .uniform_work_group_size: 1
    .uses_dynamic_stack: false
    .vgpr_count:     34
    .vgpr_spill_count: 0
    .wavefront_size: 32
  - .args:
      - .address_space:  global
        .offset:         0
        .size:           8
        .value_kind:     global_buffer
      - .offset:         8
        .size:           8
        .value_kind:     by_value
      - .offset:         16
        .size:           8
        .value_kind:     by_value
      - .offset:         24
        .size:           1
        .value_kind:     by_value
      - .offset:         32
        .size:           4
        .value_kind:     hidden_block_count_x
      - .offset:         36
        .size:           4
        .value_kind:     hidden_block_count_y
      - .offset:         40
        .size:           4
        .value_kind:     hidden_block_count_z
      - .offset:         44
        .size:           2
        .value_kind:     hidden_group_size_x
      - .offset:         46
        .size:           2
        .value_kind:     hidden_group_size_y
      - .offset:         48
        .size:           2
        .value_kind:     hidden_group_size_z
      - .offset:         50
        .size:           2
        .value_kind:     hidden_remainder_x
      - .offset:         52
        .size:           2
        .value_kind:     hidden_remainder_y
      - .offset:         54
        .size:           2
        .value_kind:     hidden_remainder_z
      - .offset:         72
        .size:           8
        .value_kind:     hidden_global_offset_x
      - .offset:         80
        .size:           8
        .value_kind:     hidden_global_offset_y
      - .offset:         88
        .size:           8
        .value_kind:     hidden_global_offset_z
      - .offset:         96
        .size:           2
        .value_kind:     hidden_grid_dims
    .group_segment_fixed_size: 0
    .kernarg_segment_align: 8
    .kernarg_segment_size: 288
    .language:       OpenCL C
    .language_version:
      - 2
      - 0
    .max_flat_workgroup_size: 1024
    .name:           _Z11fill_kernelI12hip_bfloat16Z21hipblaslt_init_deviceIS0_Ev8ABC_dims24hipblaslt_initializationbPT_mmmmmEUlmE4_EvS5_mmT0_
    .private_segment_fixed_size: 0
    .sgpr_count:     12
    .sgpr_spill_count: 0
    .symbol:         _Z11fill_kernelI12hip_bfloat16Z21hipblaslt_init_deviceIS0_Ev8ABC_dims24hipblaslt_initializationbPT_mmmmmEUlmE4_EvS5_mmT0_.kd
    .uniform_work_group_size: 1
    .uses_dynamic_stack: false
    .vgpr_count:     12
    .vgpr_spill_count: 0
    .wavefront_size: 32
  - .args:
      - .address_space:  global
        .offset:         0
        .size:           8
        .value_kind:     global_buffer
      - .offset:         8
        .size:           8
        .value_kind:     by_value
      - .offset:         16
        .size:           8
        .value_kind:     by_value
      - .offset:         24
        .size:           1
        .value_kind:     by_value
      - .offset:         32
        .size:           4
        .value_kind:     hidden_block_count_x
      - .offset:         36
        .size:           4
        .value_kind:     hidden_block_count_y
      - .offset:         40
        .size:           4
        .value_kind:     hidden_block_count_z
      - .offset:         44
        .size:           2
        .value_kind:     hidden_group_size_x
      - .offset:         46
        .size:           2
        .value_kind:     hidden_group_size_y
      - .offset:         48
        .size:           2
        .value_kind:     hidden_group_size_z
      - .offset:         50
        .size:           2
        .value_kind:     hidden_remainder_x
      - .offset:         52
        .size:           2
        .value_kind:     hidden_remainder_y
      - .offset:         54
        .size:           2
        .value_kind:     hidden_remainder_z
      - .offset:         72
        .size:           8
        .value_kind:     hidden_global_offset_x
      - .offset:         80
        .size:           8
        .value_kind:     hidden_global_offset_y
      - .offset:         88
        .size:           8
        .value_kind:     hidden_global_offset_z
      - .offset:         96
        .size:           2
        .value_kind:     hidden_grid_dims
    .group_segment_fixed_size: 0
    .kernarg_segment_align: 8
    .kernarg_segment_size: 288
    .language:       OpenCL C
    .language_version:
      - 2
      - 0
    .max_flat_workgroup_size: 1024
    .name:           _Z11fill_kernelI12hip_bfloat16Z21hipblaslt_init_deviceIS0_Ev8ABC_dims24hipblaslt_initializationbPT_mmmmmEUlmE5_EvS5_mmT0_
    .private_segment_fixed_size: 0
    .sgpr_count:     10
    .sgpr_spill_count: 0
    .symbol:         _Z11fill_kernelI12hip_bfloat16Z21hipblaslt_init_deviceIS0_Ev8ABC_dims24hipblaslt_initializationbPT_mmmmmEUlmE5_EvS5_mmT0_.kd
    .uniform_work_group_size: 1
    .uses_dynamic_stack: false
    .vgpr_count:     3
    .vgpr_spill_count: 0
    .wavefront_size: 32
  - .args:
      - .address_space:  global
        .offset:         0
        .size:           8
        .value_kind:     global_buffer
      - .offset:         8
        .size:           8
        .value_kind:     by_value
      - .offset:         16
        .size:           8
        .value_kind:     by_value
      - .offset:         24
        .size:           1
        .value_kind:     by_value
      - .offset:         32
        .size:           4
        .value_kind:     hidden_block_count_x
      - .offset:         36
        .size:           4
        .value_kind:     hidden_block_count_y
      - .offset:         40
        .size:           4
        .value_kind:     hidden_block_count_z
      - .offset:         44
        .size:           2
        .value_kind:     hidden_group_size_x
      - .offset:         46
        .size:           2
        .value_kind:     hidden_group_size_y
      - .offset:         48
        .size:           2
        .value_kind:     hidden_group_size_z
      - .offset:         50
        .size:           2
        .value_kind:     hidden_remainder_x
      - .offset:         52
        .size:           2
        .value_kind:     hidden_remainder_y
      - .offset:         54
        .size:           2
        .value_kind:     hidden_remainder_z
      - .offset:         72
        .size:           8
        .value_kind:     hidden_global_offset_x
      - .offset:         80
        .size:           8
        .value_kind:     hidden_global_offset_y
      - .offset:         88
        .size:           8
        .value_kind:     hidden_global_offset_z
      - .offset:         96
        .size:           2
        .value_kind:     hidden_grid_dims
    .group_segment_fixed_size: 0
    .kernarg_segment_align: 8
    .kernarg_segment_size: 288
    .language:       OpenCL C
    .language_version:
      - 2
      - 0
    .max_flat_workgroup_size: 1024
    .name:           _Z11fill_kernelI12hip_bfloat16Z21hipblaslt_init_deviceIS0_Ev8ABC_dims24hipblaslt_initializationbPT_mmmmmEUlmE6_EvS5_mmT0_
    .private_segment_fixed_size: 0
    .sgpr_count:     10
    .sgpr_spill_count: 0
    .symbol:         _Z11fill_kernelI12hip_bfloat16Z21hipblaslt_init_deviceIS0_Ev8ABC_dims24hipblaslt_initializationbPT_mmmmmEUlmE6_EvS5_mmT0_.kd
    .uniform_work_group_size: 1
    .uses_dynamic_stack: false
    .vgpr_count:     3
    .vgpr_spill_count: 0
    .wavefront_size: 32
  - .args:
      - .address_space:  global
        .offset:         0
        .size:           8
        .value_kind:     global_buffer
      - .offset:         8
        .size:           8
        .value_kind:     by_value
      - .offset:         16
        .size:           8
        .value_kind:     by_value
      - .offset:         24
        .size:           1
        .value_kind:     by_value
      - .offset:         32
        .size:           4
        .value_kind:     hidden_block_count_x
      - .offset:         36
        .size:           4
        .value_kind:     hidden_block_count_y
      - .offset:         40
        .size:           4
        .value_kind:     hidden_block_count_z
      - .offset:         44
        .size:           2
        .value_kind:     hidden_group_size_x
      - .offset:         46
        .size:           2
        .value_kind:     hidden_group_size_y
      - .offset:         48
        .size:           2
        .value_kind:     hidden_group_size_z
      - .offset:         50
        .size:           2
        .value_kind:     hidden_remainder_x
      - .offset:         52
        .size:           2
        .value_kind:     hidden_remainder_y
      - .offset:         54
        .size:           2
        .value_kind:     hidden_remainder_z
      - .offset:         72
        .size:           8
        .value_kind:     hidden_global_offset_x
      - .offset:         80
        .size:           8
        .value_kind:     hidden_global_offset_y
      - .offset:         88
        .size:           8
        .value_kind:     hidden_global_offset_z
      - .offset:         96
        .size:           2
        .value_kind:     hidden_grid_dims
    .group_segment_fixed_size: 0
    .kernarg_segment_align: 8
    .kernarg_segment_size: 288
    .language:       OpenCL C
    .language_version:
      - 2
      - 0
    .max_flat_workgroup_size: 1024
    .name:           _Z11fill_kernelI12hip_bfloat16Z21hipblaslt_init_deviceIS0_Ev8ABC_dims24hipblaslt_initializationbPT_mmmmmEUlmE7_EvS5_mmT0_
    .private_segment_fixed_size: 0
    .sgpr_count:     12
    .sgpr_spill_count: 0
    .symbol:         _Z11fill_kernelI12hip_bfloat16Z21hipblaslt_init_deviceIS0_Ev8ABC_dims24hipblaslt_initializationbPT_mmmmmEUlmE7_EvS5_mmT0_.kd
    .uniform_work_group_size: 1
    .uses_dynamic_stack: false
    .vgpr_count:     6
    .vgpr_spill_count: 0
    .wavefront_size: 32
  - .args:
      - .address_space:  global
        .offset:         0
        .size:           8
        .value_kind:     global_buffer
      - .offset:         8
        .size:           8
        .value_kind:     by_value
      - .offset:         16
        .size:           8
        .value_kind:     by_value
      - .offset:         24
        .size:           1
        .value_kind:     by_value
      - .offset:         32
        .size:           4
        .value_kind:     hidden_block_count_x
      - .offset:         36
        .size:           4
        .value_kind:     hidden_block_count_y
      - .offset:         40
        .size:           4
        .value_kind:     hidden_block_count_z
      - .offset:         44
        .size:           2
        .value_kind:     hidden_group_size_x
      - .offset:         46
        .size:           2
        .value_kind:     hidden_group_size_y
      - .offset:         48
        .size:           2
        .value_kind:     hidden_group_size_z
      - .offset:         50
        .size:           2
        .value_kind:     hidden_remainder_x
      - .offset:         52
        .size:           2
        .value_kind:     hidden_remainder_y
      - .offset:         54
        .size:           2
        .value_kind:     hidden_remainder_z
      - .offset:         72
        .size:           8
        .value_kind:     hidden_global_offset_x
      - .offset:         80
        .size:           8
        .value_kind:     hidden_global_offset_y
      - .offset:         88
        .size:           8
        .value_kind:     hidden_global_offset_z
      - .offset:         96
        .size:           2
        .value_kind:     hidden_grid_dims
    .group_segment_fixed_size: 0
    .kernarg_segment_align: 8
    .kernarg_segment_size: 288
    .language:       OpenCL C
    .language_version:
      - 2
      - 0
    .max_flat_workgroup_size: 1024
    .name:           _Z11fill_kernelI12hip_bfloat16Z21hipblaslt_init_deviceIS0_Ev8ABC_dims24hipblaslt_initializationbPT_mmmmmEUlmE8_EvS5_mmT0_
    .private_segment_fixed_size: 0
    .sgpr_count:     10
    .sgpr_spill_count: 0
    .symbol:         _Z11fill_kernelI12hip_bfloat16Z21hipblaslt_init_deviceIS0_Ev8ABC_dims24hipblaslt_initializationbPT_mmmmmEUlmE8_EvS5_mmT0_.kd
    .uniform_work_group_size: 1
    .uses_dynamic_stack: false
    .vgpr_count:     4
    .vgpr_spill_count: 0
    .wavefront_size: 32
  - .args:
      - .address_space:  global
        .offset:         0
        .size:           8
        .value_kind:     global_buffer
      - .offset:         8
        .size:           8
        .value_kind:     by_value
      - .offset:         16
        .size:           8
        .value_kind:     by_value
      - .offset:         24
        .size:           4
        .value_kind:     by_value
      - .offset:         32
        .size:           4
        .value_kind:     hidden_block_count_x
      - .offset:         36
        .size:           4
        .value_kind:     hidden_block_count_y
      - .offset:         40
        .size:           4
        .value_kind:     hidden_block_count_z
      - .offset:         44
        .size:           2
        .value_kind:     hidden_group_size_x
      - .offset:         46
        .size:           2
        .value_kind:     hidden_group_size_y
      - .offset:         48
        .size:           2
        .value_kind:     hidden_group_size_z
      - .offset:         50
        .size:           2
        .value_kind:     hidden_remainder_x
      - .offset:         52
        .size:           2
        .value_kind:     hidden_remainder_y
      - .offset:         54
        .size:           2
        .value_kind:     hidden_remainder_z
      - .offset:         72
        .size:           8
        .value_kind:     hidden_global_offset_x
      - .offset:         80
        .size:           8
        .value_kind:     hidden_global_offset_y
      - .offset:         88
        .size:           8
        .value_kind:     hidden_global_offset_z
      - .offset:         96
        .size:           2
        .value_kind:     hidden_grid_dims
    .group_segment_fixed_size: 0
    .kernarg_segment_align: 8
    .kernarg_segment_size: 288
    .language:       OpenCL C
    .language_version:
      - 2
      - 0
    .max_flat_workgroup_size: 1024
    .name:           _Z11fill_kernelI12hip_bfloat16Z21hipblaslt_init_deviceIS0_Ev8ABC_dims24hipblaslt_initializationbPT_mmmmmEUlmE9_EvS5_mmT0_
    .private_segment_fixed_size: 0
    .sgpr_count:     12
    .sgpr_spill_count: 0
    .symbol:         _Z11fill_kernelI12hip_bfloat16Z21hipblaslt_init_deviceIS0_Ev8ABC_dims24hipblaslt_initializationbPT_mmmmmEUlmE9_EvS5_mmT0_.kd
    .uniform_work_group_size: 1
    .uses_dynamic_stack: false
    .vgpr_count:     22
    .vgpr_spill_count: 0
    .wavefront_size: 32
  - .args:
      - .address_space:  global
        .offset:         0
        .size:           8
        .value_kind:     global_buffer
      - .offset:         8
        .size:           8
        .value_kind:     by_value
      - .offset:         16
        .size:           8
        .value_kind:     by_value
      - .offset:         24
        .size:           100
        .value_kind:     by_value
      - .offset:         128
        .size:           4
        .value_kind:     hidden_block_count_x
      - .offset:         132
        .size:           4
        .value_kind:     hidden_block_count_y
      - .offset:         136
        .size:           4
        .value_kind:     hidden_block_count_z
      - .offset:         140
        .size:           2
        .value_kind:     hidden_group_size_x
      - .offset:         142
        .size:           2
        .value_kind:     hidden_group_size_y
      - .offset:         144
        .size:           2
        .value_kind:     hidden_group_size_z
      - .offset:         146
        .size:           2
        .value_kind:     hidden_remainder_x
      - .offset:         148
        .size:           2
        .value_kind:     hidden_remainder_y
      - .offset:         150
        .size:           2
        .value_kind:     hidden_remainder_z
      - .offset:         168
        .size:           8
        .value_kind:     hidden_global_offset_x
      - .offset:         176
        .size:           8
        .value_kind:     hidden_global_offset_y
      - .offset:         184
        .size:           8
        .value_kind:     hidden_global_offset_z
      - .offset:         192
        .size:           2
        .value_kind:     hidden_grid_dims
    .group_segment_fixed_size: 0
    .kernarg_segment_align: 8
    .kernarg_segment_size: 384
    .language:       OpenCL C
    .language_version:
      - 2
      - 0
    .max_flat_workgroup_size: 1024
    .name:           _Z11fill_kernelI17hipblaslt_f8_fnuzZ21hipblaslt_init_deviceIS0_Ev8ABC_dims24hipblaslt_initializationbPT_mmmmmEUlmE_EvS5_mmT0_
    .private_segment_fixed_size: 0
    .sgpr_count:     10
    .sgpr_spill_count: 0
    .symbol:         _Z11fill_kernelI17hipblaslt_f8_fnuzZ21hipblaslt_init_deviceIS0_Ev8ABC_dims24hipblaslt_initializationbPT_mmmmmEUlmE_EvS5_mmT0_.kd
    .uniform_work_group_size: 1
    .uses_dynamic_stack: false
    .vgpr_count:     6
    .vgpr_spill_count: 0
    .wavefront_size: 32
  - .args:
      - .address_space:  global
        .offset:         0
        .size:           8
        .value_kind:     global_buffer
      - .offset:         8
        .size:           8
        .value_kind:     by_value
      - .offset:         16
        .size:           8
        .value_kind:     by_value
      - .offset:         24
        .size:           1
        .value_kind:     by_value
      - .offset:         32
        .size:           4
        .value_kind:     hidden_block_count_x
      - .offset:         36
        .size:           4
        .value_kind:     hidden_block_count_y
      - .offset:         40
        .size:           4
        .value_kind:     hidden_block_count_z
      - .offset:         44
        .size:           2
        .value_kind:     hidden_group_size_x
      - .offset:         46
        .size:           2
        .value_kind:     hidden_group_size_y
      - .offset:         48
        .size:           2
        .value_kind:     hidden_group_size_z
      - .offset:         50
        .size:           2
        .value_kind:     hidden_remainder_x
      - .offset:         52
        .size:           2
        .value_kind:     hidden_remainder_y
      - .offset:         54
        .size:           2
        .value_kind:     hidden_remainder_z
      - .offset:         72
        .size:           8
        .value_kind:     hidden_global_offset_x
      - .offset:         80
        .size:           8
        .value_kind:     hidden_global_offset_y
      - .offset:         88
        .size:           8
        .value_kind:     hidden_global_offset_z
      - .offset:         96
        .size:           2
        .value_kind:     hidden_grid_dims
    .group_segment_fixed_size: 0
    .kernarg_segment_align: 8
    .kernarg_segment_size: 288
    .language:       OpenCL C
    .language_version:
      - 2
      - 0
    .max_flat_workgroup_size: 1024
    .name:           _Z11fill_kernelI17hipblaslt_f8_fnuzZ21hipblaslt_init_deviceIS0_Ev8ABC_dims24hipblaslt_initializationbPT_mmmmmEUlmE0_EvS5_mmT0_
    .private_segment_fixed_size: 0
    .sgpr_count:     12
    .sgpr_spill_count: 0
    .symbol:         _Z11fill_kernelI17hipblaslt_f8_fnuzZ21hipblaslt_init_deviceIS0_Ev8ABC_dims24hipblaslt_initializationbPT_mmmmmEUlmE0_EvS5_mmT0_.kd
    .uniform_work_group_size: 1
    .uses_dynamic_stack: false
    .vgpr_count:     12
    .vgpr_spill_count: 0
    .wavefront_size: 32
  - .args:
      - .address_space:  global
        .offset:         0
        .size:           8
        .value_kind:     global_buffer
      - .offset:         8
        .size:           8
        .value_kind:     by_value
      - .offset:         16
        .size:           8
        .value_kind:     by_value
      - .offset:         24
        .size:           16
        .value_kind:     by_value
      - .offset:         40
        .size:           4
        .value_kind:     hidden_block_count_x
      - .offset:         44
        .size:           4
        .value_kind:     hidden_block_count_y
      - .offset:         48
        .size:           4
        .value_kind:     hidden_block_count_z
      - .offset:         52
        .size:           2
        .value_kind:     hidden_group_size_x
      - .offset:         54
        .size:           2
        .value_kind:     hidden_group_size_y
      - .offset:         56
        .size:           2
        .value_kind:     hidden_group_size_z
      - .offset:         58
        .size:           2
        .value_kind:     hidden_remainder_x
      - .offset:         60
        .size:           2
        .value_kind:     hidden_remainder_y
      - .offset:         62
        .size:           2
        .value_kind:     hidden_remainder_z
      - .offset:         80
        .size:           8
        .value_kind:     hidden_global_offset_x
      - .offset:         88
        .size:           8
        .value_kind:     hidden_global_offset_y
      - .offset:         96
        .size:           8
        .value_kind:     hidden_global_offset_z
      - .offset:         104
        .size:           2
        .value_kind:     hidden_grid_dims
    .group_segment_fixed_size: 0
    .kernarg_segment_align: 8
    .kernarg_segment_size: 296
    .language:       OpenCL C
    .language_version:
      - 2
      - 0
    .max_flat_workgroup_size: 1024
    .name:           _Z11fill_kernelI17hipblaslt_f8_fnuzZ21hipblaslt_init_deviceIS0_Ev8ABC_dims24hipblaslt_initializationbPT_mmmmmEUlmE1_EvS5_mmT0_
    .private_segment_fixed_size: 0
    .sgpr_count:     22
    .sgpr_spill_count: 0
    .symbol:         _Z11fill_kernelI17hipblaslt_f8_fnuzZ21hipblaslt_init_deviceIS0_Ev8ABC_dims24hipblaslt_initializationbPT_mmmmmEUlmE1_EvS5_mmT0_.kd
    .uniform_work_group_size: 1
    .uses_dynamic_stack: false
    .vgpr_count:     16
    .vgpr_spill_count: 0
    .wavefront_size: 32
  - .args:
      - .address_space:  global
        .offset:         0
        .size:           8
        .value_kind:     global_buffer
      - .offset:         8
        .size:           8
        .value_kind:     by_value
      - .offset:         16
        .size:           8
        .value_kind:     by_value
      - .offset:         24
        .size:           32
        .value_kind:     by_value
      - .offset:         56
        .size:           4
        .value_kind:     hidden_block_count_x
      - .offset:         60
        .size:           4
        .value_kind:     hidden_block_count_y
      - .offset:         64
        .size:           4
        .value_kind:     hidden_block_count_z
      - .offset:         68
        .size:           2
        .value_kind:     hidden_group_size_x
      - .offset:         70
        .size:           2
        .value_kind:     hidden_group_size_y
      - .offset:         72
        .size:           2
        .value_kind:     hidden_group_size_z
      - .offset:         74
        .size:           2
        .value_kind:     hidden_remainder_x
      - .offset:         76
        .size:           2
        .value_kind:     hidden_remainder_y
      - .offset:         78
        .size:           2
        .value_kind:     hidden_remainder_z
      - .offset:         96
        .size:           8
        .value_kind:     hidden_global_offset_x
      - .offset:         104
        .size:           8
        .value_kind:     hidden_global_offset_y
      - .offset:         112
        .size:           8
        .value_kind:     hidden_global_offset_z
      - .offset:         120
        .size:           2
        .value_kind:     hidden_grid_dims
    .group_segment_fixed_size: 0
    .kernarg_segment_align: 8
    .kernarg_segment_size: 312
    .language:       OpenCL C
    .language_version:
      - 2
      - 0
    .max_flat_workgroup_size: 1024
    .name:           _Z11fill_kernelI17hipblaslt_f8_fnuzZ21hipblaslt_init_deviceIS0_Ev8ABC_dims24hipblaslt_initializationbPT_mmmmmEUlmE2_EvS5_mmT0_
    .private_segment_fixed_size: 0
    .sgpr_count:     26
    .sgpr_spill_count: 0
    .symbol:         _Z11fill_kernelI17hipblaslt_f8_fnuzZ21hipblaslt_init_deviceIS0_Ev8ABC_dims24hipblaslt_initializationbPT_mmmmmEUlmE2_EvS5_mmT0_.kd
    .uniform_work_group_size: 1
    .uses_dynamic_stack: false
    .vgpr_count:     34
    .vgpr_spill_count: 0
    .wavefront_size: 32
  - .args:
      - .address_space:  global
        .offset:         0
        .size:           8
        .value_kind:     global_buffer
      - .offset:         8
        .size:           8
        .value_kind:     by_value
      - .offset:         16
        .size:           8
        .value_kind:     by_value
      - .offset:         24
        .size:           32
        .value_kind:     by_value
      - .offset:         56
        .size:           4
        .value_kind:     hidden_block_count_x
      - .offset:         60
        .size:           4
        .value_kind:     hidden_block_count_y
      - .offset:         64
        .size:           4
        .value_kind:     hidden_block_count_z
      - .offset:         68
        .size:           2
        .value_kind:     hidden_group_size_x
      - .offset:         70
        .size:           2
        .value_kind:     hidden_group_size_y
      - .offset:         72
        .size:           2
        .value_kind:     hidden_group_size_z
      - .offset:         74
        .size:           2
        .value_kind:     hidden_remainder_x
      - .offset:         76
        .size:           2
        .value_kind:     hidden_remainder_y
      - .offset:         78
        .size:           2
        .value_kind:     hidden_remainder_z
      - .offset:         96
        .size:           8
        .value_kind:     hidden_global_offset_x
      - .offset:         104
        .size:           8
        .value_kind:     hidden_global_offset_y
      - .offset:         112
        .size:           8
        .value_kind:     hidden_global_offset_z
      - .offset:         120
        .size:           2
        .value_kind:     hidden_grid_dims
    .group_segment_fixed_size: 0
    .kernarg_segment_align: 8
    .kernarg_segment_size: 312
    .language:       OpenCL C
    .language_version:
      - 2
      - 0
    .max_flat_workgroup_size: 1024
    .name:           _Z11fill_kernelI17hipblaslt_f8_fnuzZ21hipblaslt_init_deviceIS0_Ev8ABC_dims24hipblaslt_initializationbPT_mmmmmEUlmE3_EvS5_mmT0_
    .private_segment_fixed_size: 0
    .sgpr_count:     26
    .sgpr_spill_count: 0
    .symbol:         _Z11fill_kernelI17hipblaslt_f8_fnuzZ21hipblaslt_init_deviceIS0_Ev8ABC_dims24hipblaslt_initializationbPT_mmmmmEUlmE3_EvS5_mmT0_.kd
    .uniform_work_group_size: 1
    .uses_dynamic_stack: false
    .vgpr_count:     34
    .vgpr_spill_count: 0
    .wavefront_size: 32
  - .args:
      - .address_space:  global
        .offset:         0
        .size:           8
        .value_kind:     global_buffer
      - .offset:         8
        .size:           8
        .value_kind:     by_value
      - .offset:         16
        .size:           8
        .value_kind:     by_value
      - .offset:         24
        .size:           1
        .value_kind:     by_value
      - .offset:         32
        .size:           4
        .value_kind:     hidden_block_count_x
      - .offset:         36
        .size:           4
        .value_kind:     hidden_block_count_y
      - .offset:         40
        .size:           4
        .value_kind:     hidden_block_count_z
      - .offset:         44
        .size:           2
        .value_kind:     hidden_group_size_x
      - .offset:         46
        .size:           2
        .value_kind:     hidden_group_size_y
      - .offset:         48
        .size:           2
        .value_kind:     hidden_group_size_z
      - .offset:         50
        .size:           2
        .value_kind:     hidden_remainder_x
      - .offset:         52
        .size:           2
        .value_kind:     hidden_remainder_y
      - .offset:         54
        .size:           2
        .value_kind:     hidden_remainder_z
      - .offset:         72
        .size:           8
        .value_kind:     hidden_global_offset_x
      - .offset:         80
        .size:           8
        .value_kind:     hidden_global_offset_y
      - .offset:         88
        .size:           8
        .value_kind:     hidden_global_offset_z
      - .offset:         96
        .size:           2
        .value_kind:     hidden_grid_dims
    .group_segment_fixed_size: 0
    .kernarg_segment_align: 8
    .kernarg_segment_size: 288
    .language:       OpenCL C
    .language_version:
      - 2
      - 0
    .max_flat_workgroup_size: 1024
    .name:           _Z11fill_kernelI17hipblaslt_f8_fnuzZ21hipblaslt_init_deviceIS0_Ev8ABC_dims24hipblaslt_initializationbPT_mmmmmEUlmE4_EvS5_mmT0_
    .private_segment_fixed_size: 0
    .sgpr_count:     12
    .sgpr_spill_count: 0
    .symbol:         _Z11fill_kernelI17hipblaslt_f8_fnuzZ21hipblaslt_init_deviceIS0_Ev8ABC_dims24hipblaslt_initializationbPT_mmmmmEUlmE4_EvS5_mmT0_.kd
    .uniform_work_group_size: 1
    .uses_dynamic_stack: false
    .vgpr_count:     16
    .vgpr_spill_count: 0
    .wavefront_size: 32
  - .args:
      - .address_space:  global
        .offset:         0
        .size:           8
        .value_kind:     global_buffer
      - .offset:         8
        .size:           8
        .value_kind:     by_value
      - .offset:         16
        .size:           8
        .value_kind:     by_value
      - .offset:         24
        .size:           1
        .value_kind:     by_value
      - .offset:         32
        .size:           4
        .value_kind:     hidden_block_count_x
      - .offset:         36
        .size:           4
        .value_kind:     hidden_block_count_y
      - .offset:         40
        .size:           4
        .value_kind:     hidden_block_count_z
      - .offset:         44
        .size:           2
        .value_kind:     hidden_group_size_x
      - .offset:         46
        .size:           2
        .value_kind:     hidden_group_size_y
      - .offset:         48
        .size:           2
        .value_kind:     hidden_group_size_z
      - .offset:         50
        .size:           2
        .value_kind:     hidden_remainder_x
      - .offset:         52
        .size:           2
        .value_kind:     hidden_remainder_y
      - .offset:         54
        .size:           2
        .value_kind:     hidden_remainder_z
      - .offset:         72
        .size:           8
        .value_kind:     hidden_global_offset_x
      - .offset:         80
        .size:           8
        .value_kind:     hidden_global_offset_y
      - .offset:         88
        .size:           8
        .value_kind:     hidden_global_offset_z
      - .offset:         96
        .size:           2
        .value_kind:     hidden_grid_dims
    .group_segment_fixed_size: 0
    .kernarg_segment_align: 8
    .kernarg_segment_size: 288
    .language:       OpenCL C
    .language_version:
      - 2
      - 0
    .max_flat_workgroup_size: 1024
    .name:           _Z11fill_kernelI17hipblaslt_f8_fnuzZ21hipblaslt_init_deviceIS0_Ev8ABC_dims24hipblaslt_initializationbPT_mmmmmEUlmE5_EvS5_mmT0_
    .private_segment_fixed_size: 0
    .sgpr_count:     10
    .sgpr_spill_count: 0
    .symbol:         _Z11fill_kernelI17hipblaslt_f8_fnuzZ21hipblaslt_init_deviceIS0_Ev8ABC_dims24hipblaslt_initializationbPT_mmmmmEUlmE5_EvS5_mmT0_.kd
    .uniform_work_group_size: 1
    .uses_dynamic_stack: false
    .vgpr_count:     3
    .vgpr_spill_count: 0
    .wavefront_size: 32
  - .args:
      - .address_space:  global
        .offset:         0
        .size:           8
        .value_kind:     global_buffer
      - .offset:         8
        .size:           8
        .value_kind:     by_value
      - .offset:         16
        .size:           8
        .value_kind:     by_value
      - .offset:         24
        .size:           1
        .value_kind:     by_value
      - .offset:         32
        .size:           4
        .value_kind:     hidden_block_count_x
      - .offset:         36
        .size:           4
        .value_kind:     hidden_block_count_y
      - .offset:         40
        .size:           4
        .value_kind:     hidden_block_count_z
      - .offset:         44
        .size:           2
        .value_kind:     hidden_group_size_x
      - .offset:         46
        .size:           2
        .value_kind:     hidden_group_size_y
      - .offset:         48
        .size:           2
        .value_kind:     hidden_group_size_z
      - .offset:         50
        .size:           2
        .value_kind:     hidden_remainder_x
      - .offset:         52
        .size:           2
        .value_kind:     hidden_remainder_y
      - .offset:         54
        .size:           2
        .value_kind:     hidden_remainder_z
      - .offset:         72
        .size:           8
        .value_kind:     hidden_global_offset_x
      - .offset:         80
        .size:           8
        .value_kind:     hidden_global_offset_y
      - .offset:         88
        .size:           8
        .value_kind:     hidden_global_offset_z
      - .offset:         96
        .size:           2
        .value_kind:     hidden_grid_dims
    .group_segment_fixed_size: 0
    .kernarg_segment_align: 8
    .kernarg_segment_size: 288
    .language:       OpenCL C
    .language_version:
      - 2
      - 0
    .max_flat_workgroup_size: 1024
    .name:           _Z11fill_kernelI17hipblaslt_f8_fnuzZ21hipblaslt_init_deviceIS0_Ev8ABC_dims24hipblaslt_initializationbPT_mmmmmEUlmE6_EvS5_mmT0_
    .private_segment_fixed_size: 0
    .sgpr_count:     10
    .sgpr_spill_count: 0
    .symbol:         _Z11fill_kernelI17hipblaslt_f8_fnuzZ21hipblaslt_init_deviceIS0_Ev8ABC_dims24hipblaslt_initializationbPT_mmmmmEUlmE6_EvS5_mmT0_.kd
    .uniform_work_group_size: 1
    .uses_dynamic_stack: false
    .vgpr_count:     4
    .vgpr_spill_count: 0
    .wavefront_size: 32
  - .args:
      - .address_space:  global
        .offset:         0
        .size:           8
        .value_kind:     global_buffer
      - .offset:         8
        .size:           8
        .value_kind:     by_value
      - .offset:         16
        .size:           8
        .value_kind:     by_value
      - .offset:         24
        .size:           1
        .value_kind:     by_value
      - .offset:         32
        .size:           4
        .value_kind:     hidden_block_count_x
      - .offset:         36
        .size:           4
        .value_kind:     hidden_block_count_y
      - .offset:         40
        .size:           4
        .value_kind:     hidden_block_count_z
      - .offset:         44
        .size:           2
        .value_kind:     hidden_group_size_x
      - .offset:         46
        .size:           2
        .value_kind:     hidden_group_size_y
      - .offset:         48
        .size:           2
        .value_kind:     hidden_group_size_z
      - .offset:         50
        .size:           2
        .value_kind:     hidden_remainder_x
      - .offset:         52
        .size:           2
        .value_kind:     hidden_remainder_y
      - .offset:         54
        .size:           2
        .value_kind:     hidden_remainder_z
      - .offset:         72
        .size:           8
        .value_kind:     hidden_global_offset_x
      - .offset:         80
        .size:           8
        .value_kind:     hidden_global_offset_y
      - .offset:         88
        .size:           8
        .value_kind:     hidden_global_offset_z
      - .offset:         96
        .size:           2
        .value_kind:     hidden_grid_dims
    .group_segment_fixed_size: 0
    .kernarg_segment_align: 8
    .kernarg_segment_size: 288
    .language:       OpenCL C
    .language_version:
      - 2
      - 0
    .max_flat_workgroup_size: 1024
    .name:           _Z11fill_kernelI17hipblaslt_f8_fnuzZ21hipblaslt_init_deviceIS0_Ev8ABC_dims24hipblaslt_initializationbPT_mmmmmEUlmE7_EvS5_mmT0_
    .private_segment_fixed_size: 0
    .sgpr_count:     12
    .sgpr_spill_count: 0
    .symbol:         _Z11fill_kernelI17hipblaslt_f8_fnuzZ21hipblaslt_init_deviceIS0_Ev8ABC_dims24hipblaslt_initializationbPT_mmmmmEUlmE7_EvS5_mmT0_.kd
    .uniform_work_group_size: 1
    .uses_dynamic_stack: false
    .vgpr_count:     12
    .vgpr_spill_count: 0
    .wavefront_size: 32
  - .args:
      - .address_space:  global
        .offset:         0
        .size:           8
        .value_kind:     global_buffer
      - .offset:         8
        .size:           8
        .value_kind:     by_value
      - .offset:         16
        .size:           8
        .value_kind:     by_value
      - .offset:         24
        .size:           1
        .value_kind:     by_value
      - .offset:         32
        .size:           4
        .value_kind:     hidden_block_count_x
      - .offset:         36
        .size:           4
        .value_kind:     hidden_block_count_y
      - .offset:         40
        .size:           4
        .value_kind:     hidden_block_count_z
      - .offset:         44
        .size:           2
        .value_kind:     hidden_group_size_x
      - .offset:         46
        .size:           2
        .value_kind:     hidden_group_size_y
      - .offset:         48
        .size:           2
        .value_kind:     hidden_group_size_z
      - .offset:         50
        .size:           2
        .value_kind:     hidden_remainder_x
      - .offset:         52
        .size:           2
        .value_kind:     hidden_remainder_y
      - .offset:         54
        .size:           2
        .value_kind:     hidden_remainder_z
      - .offset:         72
        .size:           8
        .value_kind:     hidden_global_offset_x
      - .offset:         80
        .size:           8
        .value_kind:     hidden_global_offset_y
      - .offset:         88
        .size:           8
        .value_kind:     hidden_global_offset_z
      - .offset:         96
        .size:           2
        .value_kind:     hidden_grid_dims
    .group_segment_fixed_size: 0
    .kernarg_segment_align: 8
    .kernarg_segment_size: 288
    .language:       OpenCL C
    .language_version:
      - 2
      - 0
    .max_flat_workgroup_size: 1024
    .name:           _Z11fill_kernelI17hipblaslt_f8_fnuzZ21hipblaslt_init_deviceIS0_Ev8ABC_dims24hipblaslt_initializationbPT_mmmmmEUlmE8_EvS5_mmT0_
    .private_segment_fixed_size: 0
    .sgpr_count:     10
    .sgpr_spill_count: 0
    .symbol:         _Z11fill_kernelI17hipblaslt_f8_fnuzZ21hipblaslt_init_deviceIS0_Ev8ABC_dims24hipblaslt_initializationbPT_mmmmmEUlmE8_EvS5_mmT0_.kd
    .uniform_work_group_size: 1
    .uses_dynamic_stack: false
    .vgpr_count:     4
    .vgpr_spill_count: 0
    .wavefront_size: 32
  - .args:
      - .address_space:  global
        .offset:         0
        .size:           8
        .value_kind:     global_buffer
      - .offset:         8
        .size:           8
        .value_kind:     by_value
      - .offset:         16
        .size:           8
        .value_kind:     by_value
      - .offset:         24
        .size:           4
        .value_kind:     by_value
      - .offset:         32
        .size:           4
        .value_kind:     hidden_block_count_x
      - .offset:         36
        .size:           4
        .value_kind:     hidden_block_count_y
      - .offset:         40
        .size:           4
        .value_kind:     hidden_block_count_z
      - .offset:         44
        .size:           2
        .value_kind:     hidden_group_size_x
      - .offset:         46
        .size:           2
        .value_kind:     hidden_group_size_y
      - .offset:         48
        .size:           2
        .value_kind:     hidden_group_size_z
      - .offset:         50
        .size:           2
        .value_kind:     hidden_remainder_x
      - .offset:         52
        .size:           2
        .value_kind:     hidden_remainder_y
      - .offset:         54
        .size:           2
        .value_kind:     hidden_remainder_z
      - .offset:         72
        .size:           8
        .value_kind:     hidden_global_offset_x
      - .offset:         80
        .size:           8
        .value_kind:     hidden_global_offset_y
      - .offset:         88
        .size:           8
        .value_kind:     hidden_global_offset_z
      - .offset:         96
        .size:           2
        .value_kind:     hidden_grid_dims
    .group_segment_fixed_size: 0
    .kernarg_segment_align: 8
    .kernarg_segment_size: 288
    .language:       OpenCL C
    .language_version:
      - 2
      - 0
    .max_flat_workgroup_size: 1024
    .name:           _Z11fill_kernelI17hipblaslt_f8_fnuzZ21hipblaslt_init_deviceIS0_Ev8ABC_dims24hipblaslt_initializationbPT_mmmmmEUlmE9_EvS5_mmT0_
    .private_segment_fixed_size: 0
    .sgpr_count:     12
    .sgpr_spill_count: 0
    .symbol:         _Z11fill_kernelI17hipblaslt_f8_fnuzZ21hipblaslt_init_deviceIS0_Ev8ABC_dims24hipblaslt_initializationbPT_mmmmmEUlmE9_EvS5_mmT0_.kd
    .uniform_work_group_size: 1
    .uses_dynamic_stack: false
    .vgpr_count:     22
    .vgpr_spill_count: 0
    .wavefront_size: 32
  - .args:
      - .address_space:  global
        .offset:         0
        .size:           8
        .value_kind:     global_buffer
      - .offset:         8
        .size:           8
        .value_kind:     by_value
      - .offset:         16
        .size:           8
        .value_kind:     by_value
      - .offset:         24
        .size:           100
        .value_kind:     by_value
      - .offset:         128
        .size:           4
        .value_kind:     hidden_block_count_x
      - .offset:         132
        .size:           4
        .value_kind:     hidden_block_count_y
      - .offset:         136
        .size:           4
        .value_kind:     hidden_block_count_z
      - .offset:         140
        .size:           2
        .value_kind:     hidden_group_size_x
      - .offset:         142
        .size:           2
        .value_kind:     hidden_group_size_y
      - .offset:         144
        .size:           2
        .value_kind:     hidden_group_size_z
      - .offset:         146
        .size:           2
        .value_kind:     hidden_remainder_x
      - .offset:         148
        .size:           2
        .value_kind:     hidden_remainder_y
      - .offset:         150
        .size:           2
        .value_kind:     hidden_remainder_z
      - .offset:         168
        .size:           8
        .value_kind:     hidden_global_offset_x
      - .offset:         176
        .size:           8
        .value_kind:     hidden_global_offset_y
      - .offset:         184
        .size:           8
        .value_kind:     hidden_global_offset_z
      - .offset:         192
        .size:           2
        .value_kind:     hidden_grid_dims
    .group_segment_fixed_size: 0
    .kernarg_segment_align: 8
    .kernarg_segment_size: 384
    .language:       OpenCL C
    .language_version:
      - 2
      - 0
    .max_flat_workgroup_size: 1024
    .name:           _Z11fill_kernelI18hipblaslt_bf8_fnuzZ21hipblaslt_init_deviceIS0_Ev8ABC_dims24hipblaslt_initializationbPT_mmmmmEUlmE_EvS5_mmT0_
    .private_segment_fixed_size: 0
    .sgpr_count:     10
    .sgpr_spill_count: 0
    .symbol:         _Z11fill_kernelI18hipblaslt_bf8_fnuzZ21hipblaslt_init_deviceIS0_Ev8ABC_dims24hipblaslt_initializationbPT_mmmmmEUlmE_EvS5_mmT0_.kd
    .uniform_work_group_size: 1
    .uses_dynamic_stack: false
    .vgpr_count:     6
    .vgpr_spill_count: 0
    .wavefront_size: 32
  - .args:
      - .address_space:  global
        .offset:         0
        .size:           8
        .value_kind:     global_buffer
      - .offset:         8
        .size:           8
        .value_kind:     by_value
      - .offset:         16
        .size:           8
        .value_kind:     by_value
      - .offset:         24
        .size:           1
        .value_kind:     by_value
      - .offset:         32
        .size:           4
        .value_kind:     hidden_block_count_x
      - .offset:         36
        .size:           4
        .value_kind:     hidden_block_count_y
      - .offset:         40
        .size:           4
        .value_kind:     hidden_block_count_z
      - .offset:         44
        .size:           2
        .value_kind:     hidden_group_size_x
      - .offset:         46
        .size:           2
        .value_kind:     hidden_group_size_y
      - .offset:         48
        .size:           2
        .value_kind:     hidden_group_size_z
      - .offset:         50
        .size:           2
        .value_kind:     hidden_remainder_x
      - .offset:         52
        .size:           2
        .value_kind:     hidden_remainder_y
      - .offset:         54
        .size:           2
        .value_kind:     hidden_remainder_z
      - .offset:         72
        .size:           8
        .value_kind:     hidden_global_offset_x
      - .offset:         80
        .size:           8
        .value_kind:     hidden_global_offset_y
      - .offset:         88
        .size:           8
        .value_kind:     hidden_global_offset_z
      - .offset:         96
        .size:           2
        .value_kind:     hidden_grid_dims
    .group_segment_fixed_size: 0
    .kernarg_segment_align: 8
    .kernarg_segment_size: 288
    .language:       OpenCL C
    .language_version:
      - 2
      - 0
    .max_flat_workgroup_size: 1024
    .name:           _Z11fill_kernelI18hipblaslt_bf8_fnuzZ21hipblaslt_init_deviceIS0_Ev8ABC_dims24hipblaslt_initializationbPT_mmmmmEUlmE0_EvS5_mmT0_
    .private_segment_fixed_size: 0
    .sgpr_count:     12
    .sgpr_spill_count: 0
    .symbol:         _Z11fill_kernelI18hipblaslt_bf8_fnuzZ21hipblaslt_init_deviceIS0_Ev8ABC_dims24hipblaslt_initializationbPT_mmmmmEUlmE0_EvS5_mmT0_.kd
    .uniform_work_group_size: 1
    .uses_dynamic_stack: false
    .vgpr_count:     12
    .vgpr_spill_count: 0
    .wavefront_size: 32
  - .args:
      - .address_space:  global
        .offset:         0
        .size:           8
        .value_kind:     global_buffer
      - .offset:         8
        .size:           8
        .value_kind:     by_value
      - .offset:         16
        .size:           8
        .value_kind:     by_value
      - .offset:         24
        .size:           16
        .value_kind:     by_value
      - .offset:         40
        .size:           4
        .value_kind:     hidden_block_count_x
      - .offset:         44
        .size:           4
        .value_kind:     hidden_block_count_y
      - .offset:         48
        .size:           4
        .value_kind:     hidden_block_count_z
      - .offset:         52
        .size:           2
        .value_kind:     hidden_group_size_x
      - .offset:         54
        .size:           2
        .value_kind:     hidden_group_size_y
      - .offset:         56
        .size:           2
        .value_kind:     hidden_group_size_z
      - .offset:         58
        .size:           2
        .value_kind:     hidden_remainder_x
      - .offset:         60
        .size:           2
        .value_kind:     hidden_remainder_y
      - .offset:         62
        .size:           2
        .value_kind:     hidden_remainder_z
      - .offset:         80
        .size:           8
        .value_kind:     hidden_global_offset_x
      - .offset:         88
        .size:           8
        .value_kind:     hidden_global_offset_y
      - .offset:         96
        .size:           8
        .value_kind:     hidden_global_offset_z
      - .offset:         104
        .size:           2
        .value_kind:     hidden_grid_dims
    .group_segment_fixed_size: 0
    .kernarg_segment_align: 8
    .kernarg_segment_size: 296
    .language:       OpenCL C
    .language_version:
      - 2
      - 0
    .max_flat_workgroup_size: 1024
    .name:           _Z11fill_kernelI18hipblaslt_bf8_fnuzZ21hipblaslt_init_deviceIS0_Ev8ABC_dims24hipblaslt_initializationbPT_mmmmmEUlmE1_EvS5_mmT0_
    .private_segment_fixed_size: 0
    .sgpr_count:     22
    .sgpr_spill_count: 0
    .symbol:         _Z11fill_kernelI18hipblaslt_bf8_fnuzZ21hipblaslt_init_deviceIS0_Ev8ABC_dims24hipblaslt_initializationbPT_mmmmmEUlmE1_EvS5_mmT0_.kd
    .uniform_work_group_size: 1
    .uses_dynamic_stack: false
    .vgpr_count:     16
    .vgpr_spill_count: 0
    .wavefront_size: 32
  - .args:
      - .address_space:  global
        .offset:         0
        .size:           8
        .value_kind:     global_buffer
      - .offset:         8
        .size:           8
        .value_kind:     by_value
      - .offset:         16
        .size:           8
        .value_kind:     by_value
      - .offset:         24
        .size:           32
        .value_kind:     by_value
      - .offset:         56
        .size:           4
        .value_kind:     hidden_block_count_x
      - .offset:         60
        .size:           4
        .value_kind:     hidden_block_count_y
      - .offset:         64
        .size:           4
        .value_kind:     hidden_block_count_z
      - .offset:         68
        .size:           2
        .value_kind:     hidden_group_size_x
      - .offset:         70
        .size:           2
        .value_kind:     hidden_group_size_y
      - .offset:         72
        .size:           2
        .value_kind:     hidden_group_size_z
      - .offset:         74
        .size:           2
        .value_kind:     hidden_remainder_x
      - .offset:         76
        .size:           2
        .value_kind:     hidden_remainder_y
      - .offset:         78
        .size:           2
        .value_kind:     hidden_remainder_z
      - .offset:         96
        .size:           8
        .value_kind:     hidden_global_offset_x
      - .offset:         104
        .size:           8
        .value_kind:     hidden_global_offset_y
      - .offset:         112
        .size:           8
        .value_kind:     hidden_global_offset_z
      - .offset:         120
        .size:           2
        .value_kind:     hidden_grid_dims
    .group_segment_fixed_size: 0
    .kernarg_segment_align: 8
    .kernarg_segment_size: 312
    .language:       OpenCL C
    .language_version:
      - 2
      - 0
    .max_flat_workgroup_size: 1024
    .name:           _Z11fill_kernelI18hipblaslt_bf8_fnuzZ21hipblaslt_init_deviceIS0_Ev8ABC_dims24hipblaslt_initializationbPT_mmmmmEUlmE2_EvS5_mmT0_
    .private_segment_fixed_size: 0
    .sgpr_count:     26
    .sgpr_spill_count: 0
    .symbol:         _Z11fill_kernelI18hipblaslt_bf8_fnuzZ21hipblaslt_init_deviceIS0_Ev8ABC_dims24hipblaslt_initializationbPT_mmmmmEUlmE2_EvS5_mmT0_.kd
    .uniform_work_group_size: 1
    .uses_dynamic_stack: false
    .vgpr_count:     34
    .vgpr_spill_count: 0
    .wavefront_size: 32
  - .args:
      - .address_space:  global
        .offset:         0
        .size:           8
        .value_kind:     global_buffer
      - .offset:         8
        .size:           8
        .value_kind:     by_value
      - .offset:         16
        .size:           8
        .value_kind:     by_value
      - .offset:         24
        .size:           32
        .value_kind:     by_value
      - .offset:         56
        .size:           4
        .value_kind:     hidden_block_count_x
      - .offset:         60
        .size:           4
        .value_kind:     hidden_block_count_y
      - .offset:         64
        .size:           4
        .value_kind:     hidden_block_count_z
      - .offset:         68
        .size:           2
        .value_kind:     hidden_group_size_x
      - .offset:         70
        .size:           2
        .value_kind:     hidden_group_size_y
      - .offset:         72
        .size:           2
        .value_kind:     hidden_group_size_z
      - .offset:         74
        .size:           2
        .value_kind:     hidden_remainder_x
      - .offset:         76
        .size:           2
        .value_kind:     hidden_remainder_y
      - .offset:         78
        .size:           2
        .value_kind:     hidden_remainder_z
      - .offset:         96
        .size:           8
        .value_kind:     hidden_global_offset_x
      - .offset:         104
        .size:           8
        .value_kind:     hidden_global_offset_y
      - .offset:         112
        .size:           8
        .value_kind:     hidden_global_offset_z
      - .offset:         120
        .size:           2
        .value_kind:     hidden_grid_dims
    .group_segment_fixed_size: 0
    .kernarg_segment_align: 8
    .kernarg_segment_size: 312
    .language:       OpenCL C
    .language_version:
      - 2
      - 0
    .max_flat_workgroup_size: 1024
    .name:           _Z11fill_kernelI18hipblaslt_bf8_fnuzZ21hipblaslt_init_deviceIS0_Ev8ABC_dims24hipblaslt_initializationbPT_mmmmmEUlmE3_EvS5_mmT0_
    .private_segment_fixed_size: 0
    .sgpr_count:     26
    .sgpr_spill_count: 0
    .symbol:         _Z11fill_kernelI18hipblaslt_bf8_fnuzZ21hipblaslt_init_deviceIS0_Ev8ABC_dims24hipblaslt_initializationbPT_mmmmmEUlmE3_EvS5_mmT0_.kd
    .uniform_work_group_size: 1
    .uses_dynamic_stack: false
    .vgpr_count:     34
    .vgpr_spill_count: 0
    .wavefront_size: 32
  - .args:
      - .address_space:  global
        .offset:         0
        .size:           8
        .value_kind:     global_buffer
      - .offset:         8
        .size:           8
        .value_kind:     by_value
      - .offset:         16
        .size:           8
        .value_kind:     by_value
      - .offset:         24
        .size:           1
        .value_kind:     by_value
      - .offset:         32
        .size:           4
        .value_kind:     hidden_block_count_x
      - .offset:         36
        .size:           4
        .value_kind:     hidden_block_count_y
      - .offset:         40
        .size:           4
        .value_kind:     hidden_block_count_z
      - .offset:         44
        .size:           2
        .value_kind:     hidden_group_size_x
      - .offset:         46
        .size:           2
        .value_kind:     hidden_group_size_y
      - .offset:         48
        .size:           2
        .value_kind:     hidden_group_size_z
      - .offset:         50
        .size:           2
        .value_kind:     hidden_remainder_x
      - .offset:         52
        .size:           2
        .value_kind:     hidden_remainder_y
      - .offset:         54
        .size:           2
        .value_kind:     hidden_remainder_z
      - .offset:         72
        .size:           8
        .value_kind:     hidden_global_offset_x
      - .offset:         80
        .size:           8
        .value_kind:     hidden_global_offset_y
      - .offset:         88
        .size:           8
        .value_kind:     hidden_global_offset_z
      - .offset:         96
        .size:           2
        .value_kind:     hidden_grid_dims
    .group_segment_fixed_size: 0
    .kernarg_segment_align: 8
    .kernarg_segment_size: 288
    .language:       OpenCL C
    .language_version:
      - 2
      - 0
    .max_flat_workgroup_size: 1024
    .name:           _Z11fill_kernelI18hipblaslt_bf8_fnuzZ21hipblaslt_init_deviceIS0_Ev8ABC_dims24hipblaslt_initializationbPT_mmmmmEUlmE4_EvS5_mmT0_
    .private_segment_fixed_size: 0
    .sgpr_count:     12
    .sgpr_spill_count: 0
    .symbol:         _Z11fill_kernelI18hipblaslt_bf8_fnuzZ21hipblaslt_init_deviceIS0_Ev8ABC_dims24hipblaslt_initializationbPT_mmmmmEUlmE4_EvS5_mmT0_.kd
    .uniform_work_group_size: 1
    .uses_dynamic_stack: false
    .vgpr_count:     16
    .vgpr_spill_count: 0
    .wavefront_size: 32
  - .args:
      - .address_space:  global
        .offset:         0
        .size:           8
        .value_kind:     global_buffer
      - .offset:         8
        .size:           8
        .value_kind:     by_value
      - .offset:         16
        .size:           8
        .value_kind:     by_value
      - .offset:         24
        .size:           1
        .value_kind:     by_value
      - .offset:         32
        .size:           4
        .value_kind:     hidden_block_count_x
      - .offset:         36
        .size:           4
        .value_kind:     hidden_block_count_y
      - .offset:         40
        .size:           4
        .value_kind:     hidden_block_count_z
      - .offset:         44
        .size:           2
        .value_kind:     hidden_group_size_x
      - .offset:         46
        .size:           2
        .value_kind:     hidden_group_size_y
      - .offset:         48
        .size:           2
        .value_kind:     hidden_group_size_z
      - .offset:         50
        .size:           2
        .value_kind:     hidden_remainder_x
      - .offset:         52
        .size:           2
        .value_kind:     hidden_remainder_y
      - .offset:         54
        .size:           2
        .value_kind:     hidden_remainder_z
      - .offset:         72
        .size:           8
        .value_kind:     hidden_global_offset_x
      - .offset:         80
        .size:           8
        .value_kind:     hidden_global_offset_y
      - .offset:         88
        .size:           8
        .value_kind:     hidden_global_offset_z
      - .offset:         96
        .size:           2
        .value_kind:     hidden_grid_dims
    .group_segment_fixed_size: 0
    .kernarg_segment_align: 8
    .kernarg_segment_size: 288
    .language:       OpenCL C
    .language_version:
      - 2
      - 0
    .max_flat_workgroup_size: 1024
    .name:           _Z11fill_kernelI18hipblaslt_bf8_fnuzZ21hipblaslt_init_deviceIS0_Ev8ABC_dims24hipblaslt_initializationbPT_mmmmmEUlmE5_EvS5_mmT0_
    .private_segment_fixed_size: 0
    .sgpr_count:     10
    .sgpr_spill_count: 0
    .symbol:         _Z11fill_kernelI18hipblaslt_bf8_fnuzZ21hipblaslt_init_deviceIS0_Ev8ABC_dims24hipblaslt_initializationbPT_mmmmmEUlmE5_EvS5_mmT0_.kd
    .uniform_work_group_size: 1
    .uses_dynamic_stack: false
    .vgpr_count:     3
    .vgpr_spill_count: 0
    .wavefront_size: 32
  - .args:
      - .address_space:  global
        .offset:         0
        .size:           8
        .value_kind:     global_buffer
      - .offset:         8
        .size:           8
        .value_kind:     by_value
      - .offset:         16
        .size:           8
        .value_kind:     by_value
      - .offset:         24
        .size:           1
        .value_kind:     by_value
      - .offset:         32
        .size:           4
        .value_kind:     hidden_block_count_x
      - .offset:         36
        .size:           4
        .value_kind:     hidden_block_count_y
      - .offset:         40
        .size:           4
        .value_kind:     hidden_block_count_z
      - .offset:         44
        .size:           2
        .value_kind:     hidden_group_size_x
      - .offset:         46
        .size:           2
        .value_kind:     hidden_group_size_y
      - .offset:         48
        .size:           2
        .value_kind:     hidden_group_size_z
      - .offset:         50
        .size:           2
        .value_kind:     hidden_remainder_x
      - .offset:         52
        .size:           2
        .value_kind:     hidden_remainder_y
      - .offset:         54
        .size:           2
        .value_kind:     hidden_remainder_z
      - .offset:         72
        .size:           8
        .value_kind:     hidden_global_offset_x
      - .offset:         80
        .size:           8
        .value_kind:     hidden_global_offset_y
      - .offset:         88
        .size:           8
        .value_kind:     hidden_global_offset_z
      - .offset:         96
        .size:           2
        .value_kind:     hidden_grid_dims
    .group_segment_fixed_size: 0
    .kernarg_segment_align: 8
    .kernarg_segment_size: 288
    .language:       OpenCL C
    .language_version:
      - 2
      - 0
    .max_flat_workgroup_size: 1024
    .name:           _Z11fill_kernelI18hipblaslt_bf8_fnuzZ21hipblaslt_init_deviceIS0_Ev8ABC_dims24hipblaslt_initializationbPT_mmmmmEUlmE6_EvS5_mmT0_
    .private_segment_fixed_size: 0
    .sgpr_count:     10
    .sgpr_spill_count: 0
    .symbol:         _Z11fill_kernelI18hipblaslt_bf8_fnuzZ21hipblaslt_init_deviceIS0_Ev8ABC_dims24hipblaslt_initializationbPT_mmmmmEUlmE6_EvS5_mmT0_.kd
    .uniform_work_group_size: 1
    .uses_dynamic_stack: false
    .vgpr_count:     3
    .vgpr_spill_count: 0
    .wavefront_size: 32
  - .args:
      - .address_space:  global
        .offset:         0
        .size:           8
        .value_kind:     global_buffer
      - .offset:         8
        .size:           8
        .value_kind:     by_value
      - .offset:         16
        .size:           8
        .value_kind:     by_value
      - .offset:         24
        .size:           1
        .value_kind:     by_value
      - .offset:         32
        .size:           4
        .value_kind:     hidden_block_count_x
      - .offset:         36
        .size:           4
        .value_kind:     hidden_block_count_y
      - .offset:         40
        .size:           4
        .value_kind:     hidden_block_count_z
      - .offset:         44
        .size:           2
        .value_kind:     hidden_group_size_x
      - .offset:         46
        .size:           2
        .value_kind:     hidden_group_size_y
      - .offset:         48
        .size:           2
        .value_kind:     hidden_group_size_z
      - .offset:         50
        .size:           2
        .value_kind:     hidden_remainder_x
      - .offset:         52
        .size:           2
        .value_kind:     hidden_remainder_y
      - .offset:         54
        .size:           2
        .value_kind:     hidden_remainder_z
      - .offset:         72
        .size:           8
        .value_kind:     hidden_global_offset_x
      - .offset:         80
        .size:           8
        .value_kind:     hidden_global_offset_y
      - .offset:         88
        .size:           8
        .value_kind:     hidden_global_offset_z
      - .offset:         96
        .size:           2
        .value_kind:     hidden_grid_dims
    .group_segment_fixed_size: 0
    .kernarg_segment_align: 8
    .kernarg_segment_size: 288
    .language:       OpenCL C
    .language_version:
      - 2
      - 0
    .max_flat_workgroup_size: 1024
    .name:           _Z11fill_kernelI18hipblaslt_bf8_fnuzZ21hipblaslt_init_deviceIS0_Ev8ABC_dims24hipblaslt_initializationbPT_mmmmmEUlmE7_EvS5_mmT0_
    .private_segment_fixed_size: 0
    .sgpr_count:     12
    .sgpr_spill_count: 0
    .symbol:         _Z11fill_kernelI18hipblaslt_bf8_fnuzZ21hipblaslt_init_deviceIS0_Ev8ABC_dims24hipblaslt_initializationbPT_mmmmmEUlmE7_EvS5_mmT0_.kd
    .uniform_work_group_size: 1
    .uses_dynamic_stack: false
    .vgpr_count:     12
    .vgpr_spill_count: 0
    .wavefront_size: 32
  - .args:
      - .address_space:  global
        .offset:         0
        .size:           8
        .value_kind:     global_buffer
      - .offset:         8
        .size:           8
        .value_kind:     by_value
      - .offset:         16
        .size:           8
        .value_kind:     by_value
      - .offset:         24
        .size:           1
        .value_kind:     by_value
      - .offset:         32
        .size:           4
        .value_kind:     hidden_block_count_x
      - .offset:         36
        .size:           4
        .value_kind:     hidden_block_count_y
      - .offset:         40
        .size:           4
        .value_kind:     hidden_block_count_z
      - .offset:         44
        .size:           2
        .value_kind:     hidden_group_size_x
      - .offset:         46
        .size:           2
        .value_kind:     hidden_group_size_y
      - .offset:         48
        .size:           2
        .value_kind:     hidden_group_size_z
      - .offset:         50
        .size:           2
        .value_kind:     hidden_remainder_x
      - .offset:         52
        .size:           2
        .value_kind:     hidden_remainder_y
      - .offset:         54
        .size:           2
        .value_kind:     hidden_remainder_z
      - .offset:         72
        .size:           8
        .value_kind:     hidden_global_offset_x
      - .offset:         80
        .size:           8
        .value_kind:     hidden_global_offset_y
      - .offset:         88
        .size:           8
        .value_kind:     hidden_global_offset_z
      - .offset:         96
        .size:           2
        .value_kind:     hidden_grid_dims
    .group_segment_fixed_size: 0
    .kernarg_segment_align: 8
    .kernarg_segment_size: 288
    .language:       OpenCL C
    .language_version:
      - 2
      - 0
    .max_flat_workgroup_size: 1024
    .name:           _Z11fill_kernelI18hipblaslt_bf8_fnuzZ21hipblaslt_init_deviceIS0_Ev8ABC_dims24hipblaslt_initializationbPT_mmmmmEUlmE8_EvS5_mmT0_
    .private_segment_fixed_size: 0
    .sgpr_count:     10
    .sgpr_spill_count: 0
    .symbol:         _Z11fill_kernelI18hipblaslt_bf8_fnuzZ21hipblaslt_init_deviceIS0_Ev8ABC_dims24hipblaslt_initializationbPT_mmmmmEUlmE8_EvS5_mmT0_.kd
    .uniform_work_group_size: 1
    .uses_dynamic_stack: false
    .vgpr_count:     4
    .vgpr_spill_count: 0
    .wavefront_size: 32
  - .args:
      - .address_space:  global
        .offset:         0
        .size:           8
        .value_kind:     global_buffer
      - .offset:         8
        .size:           8
        .value_kind:     by_value
      - .offset:         16
        .size:           8
        .value_kind:     by_value
      - .offset:         24
        .size:           4
        .value_kind:     by_value
      - .offset:         32
        .size:           4
        .value_kind:     hidden_block_count_x
      - .offset:         36
        .size:           4
        .value_kind:     hidden_block_count_y
      - .offset:         40
        .size:           4
        .value_kind:     hidden_block_count_z
      - .offset:         44
        .size:           2
        .value_kind:     hidden_group_size_x
      - .offset:         46
        .size:           2
        .value_kind:     hidden_group_size_y
      - .offset:         48
        .size:           2
        .value_kind:     hidden_group_size_z
      - .offset:         50
        .size:           2
        .value_kind:     hidden_remainder_x
      - .offset:         52
        .size:           2
        .value_kind:     hidden_remainder_y
      - .offset:         54
        .size:           2
        .value_kind:     hidden_remainder_z
      - .offset:         72
        .size:           8
        .value_kind:     hidden_global_offset_x
      - .offset:         80
        .size:           8
        .value_kind:     hidden_global_offset_y
      - .offset:         88
        .size:           8
        .value_kind:     hidden_global_offset_z
      - .offset:         96
        .size:           2
        .value_kind:     hidden_grid_dims
    .group_segment_fixed_size: 0
    .kernarg_segment_align: 8
    .kernarg_segment_size: 288
    .language:       OpenCL C
    .language_version:
      - 2
      - 0
    .max_flat_workgroup_size: 1024
    .name:           _Z11fill_kernelI18hipblaslt_bf8_fnuzZ21hipblaslt_init_deviceIS0_Ev8ABC_dims24hipblaslt_initializationbPT_mmmmmEUlmE9_EvS5_mmT0_
    .private_segment_fixed_size: 0
    .sgpr_count:     12
    .sgpr_spill_count: 0
    .symbol:         _Z11fill_kernelI18hipblaslt_bf8_fnuzZ21hipblaslt_init_deviceIS0_Ev8ABC_dims24hipblaslt_initializationbPT_mmmmmEUlmE9_EvS5_mmT0_.kd
    .uniform_work_group_size: 1
    .uses_dynamic_stack: false
    .vgpr_count:     22
    .vgpr_spill_count: 0
    .wavefront_size: 32
  - .args:
      - .address_space:  global
        .offset:         0
        .size:           8
        .value_kind:     global_buffer
      - .offset:         8
        .size:           8
        .value_kind:     by_value
      - .offset:         16
        .size:           8
        .value_kind:     by_value
      - .offset:         24
        .size:           100
        .value_kind:     by_value
      - .offset:         128
        .size:           4
        .value_kind:     hidden_block_count_x
      - .offset:         132
        .size:           4
        .value_kind:     hidden_block_count_y
      - .offset:         136
        .size:           4
        .value_kind:     hidden_block_count_z
      - .offset:         140
        .size:           2
        .value_kind:     hidden_group_size_x
      - .offset:         142
        .size:           2
        .value_kind:     hidden_group_size_y
      - .offset:         144
        .size:           2
        .value_kind:     hidden_group_size_z
      - .offset:         146
        .size:           2
        .value_kind:     hidden_remainder_x
      - .offset:         148
        .size:           2
        .value_kind:     hidden_remainder_y
      - .offset:         150
        .size:           2
        .value_kind:     hidden_remainder_z
      - .offset:         168
        .size:           8
        .value_kind:     hidden_global_offset_x
      - .offset:         176
        .size:           8
        .value_kind:     hidden_global_offset_y
      - .offset:         184
        .size:           8
        .value_kind:     hidden_global_offset_z
      - .offset:         192
        .size:           2
        .value_kind:     hidden_grid_dims
    .group_segment_fixed_size: 0
    .kernarg_segment_align: 8
    .kernarg_segment_size: 384
    .language:       OpenCL C
    .language_version:
      - 2
      - 0
    .max_flat_workgroup_size: 1024
    .name:           _Z11fill_kernelI12hipblaslt_f8Z21hipblaslt_init_deviceIS0_Ev8ABC_dims24hipblaslt_initializationbPT_mmmmmEUlmE_EvS5_mmT0_
    .private_segment_fixed_size: 0
    .sgpr_count:     10
    .sgpr_spill_count: 0
    .symbol:         _Z11fill_kernelI12hipblaslt_f8Z21hipblaslt_init_deviceIS0_Ev8ABC_dims24hipblaslt_initializationbPT_mmmmmEUlmE_EvS5_mmT0_.kd
    .uniform_work_group_size: 1
    .uses_dynamic_stack: false
    .vgpr_count:     6
    .vgpr_spill_count: 0
    .wavefront_size: 32
  - .args:
      - .address_space:  global
        .offset:         0
        .size:           8
        .value_kind:     global_buffer
      - .offset:         8
        .size:           8
        .value_kind:     by_value
      - .offset:         16
        .size:           8
        .value_kind:     by_value
      - .offset:         24
        .size:           1
        .value_kind:     by_value
      - .offset:         32
        .size:           4
        .value_kind:     hidden_block_count_x
      - .offset:         36
        .size:           4
        .value_kind:     hidden_block_count_y
      - .offset:         40
        .size:           4
        .value_kind:     hidden_block_count_z
      - .offset:         44
        .size:           2
        .value_kind:     hidden_group_size_x
      - .offset:         46
        .size:           2
        .value_kind:     hidden_group_size_y
      - .offset:         48
        .size:           2
        .value_kind:     hidden_group_size_z
      - .offset:         50
        .size:           2
        .value_kind:     hidden_remainder_x
      - .offset:         52
        .size:           2
        .value_kind:     hidden_remainder_y
      - .offset:         54
        .size:           2
        .value_kind:     hidden_remainder_z
      - .offset:         72
        .size:           8
        .value_kind:     hidden_global_offset_x
      - .offset:         80
        .size:           8
        .value_kind:     hidden_global_offset_y
      - .offset:         88
        .size:           8
        .value_kind:     hidden_global_offset_z
      - .offset:         96
        .size:           2
        .value_kind:     hidden_grid_dims
    .group_segment_fixed_size: 0
    .kernarg_segment_align: 8
    .kernarg_segment_size: 288
    .language:       OpenCL C
    .language_version:
      - 2
      - 0
    .max_flat_workgroup_size: 1024
    .name:           _Z11fill_kernelI12hipblaslt_f8Z21hipblaslt_init_deviceIS0_Ev8ABC_dims24hipblaslt_initializationbPT_mmmmmEUlmE0_EvS5_mmT0_
    .private_segment_fixed_size: 0
    .sgpr_count:     12
    .sgpr_spill_count: 0
    .symbol:         _Z11fill_kernelI12hipblaslt_f8Z21hipblaslt_init_deviceIS0_Ev8ABC_dims24hipblaslt_initializationbPT_mmmmmEUlmE0_EvS5_mmT0_.kd
    .uniform_work_group_size: 1
    .uses_dynamic_stack: false
    .vgpr_count:     12
    .vgpr_spill_count: 0
    .wavefront_size: 32
  - .args:
      - .address_space:  global
        .offset:         0
        .size:           8
        .value_kind:     global_buffer
      - .offset:         8
        .size:           8
        .value_kind:     by_value
      - .offset:         16
        .size:           8
        .value_kind:     by_value
      - .offset:         24
        .size:           16
        .value_kind:     by_value
      - .offset:         40
        .size:           4
        .value_kind:     hidden_block_count_x
      - .offset:         44
        .size:           4
        .value_kind:     hidden_block_count_y
      - .offset:         48
        .size:           4
        .value_kind:     hidden_block_count_z
      - .offset:         52
        .size:           2
        .value_kind:     hidden_group_size_x
      - .offset:         54
        .size:           2
        .value_kind:     hidden_group_size_y
      - .offset:         56
        .size:           2
        .value_kind:     hidden_group_size_z
      - .offset:         58
        .size:           2
        .value_kind:     hidden_remainder_x
      - .offset:         60
        .size:           2
        .value_kind:     hidden_remainder_y
      - .offset:         62
        .size:           2
        .value_kind:     hidden_remainder_z
      - .offset:         80
        .size:           8
        .value_kind:     hidden_global_offset_x
      - .offset:         88
        .size:           8
        .value_kind:     hidden_global_offset_y
      - .offset:         96
        .size:           8
        .value_kind:     hidden_global_offset_z
      - .offset:         104
        .size:           2
        .value_kind:     hidden_grid_dims
    .group_segment_fixed_size: 0
    .kernarg_segment_align: 8
    .kernarg_segment_size: 296
    .language:       OpenCL C
    .language_version:
      - 2
      - 0
    .max_flat_workgroup_size: 1024
    .name:           _Z11fill_kernelI12hipblaslt_f8Z21hipblaslt_init_deviceIS0_Ev8ABC_dims24hipblaslt_initializationbPT_mmmmmEUlmE1_EvS5_mmT0_
    .private_segment_fixed_size: 0
    .sgpr_count:     22
    .sgpr_spill_count: 0
    .symbol:         _Z11fill_kernelI12hipblaslt_f8Z21hipblaslt_init_deviceIS0_Ev8ABC_dims24hipblaslt_initializationbPT_mmmmmEUlmE1_EvS5_mmT0_.kd
    .uniform_work_group_size: 1
    .uses_dynamic_stack: false
    .vgpr_count:     16
    .vgpr_spill_count: 0
    .wavefront_size: 32
  - .args:
      - .address_space:  global
        .offset:         0
        .size:           8
        .value_kind:     global_buffer
      - .offset:         8
        .size:           8
        .value_kind:     by_value
      - .offset:         16
        .size:           8
        .value_kind:     by_value
      - .offset:         24
        .size:           32
        .value_kind:     by_value
      - .offset:         56
        .size:           4
        .value_kind:     hidden_block_count_x
      - .offset:         60
        .size:           4
        .value_kind:     hidden_block_count_y
      - .offset:         64
        .size:           4
        .value_kind:     hidden_block_count_z
      - .offset:         68
        .size:           2
        .value_kind:     hidden_group_size_x
      - .offset:         70
        .size:           2
        .value_kind:     hidden_group_size_y
      - .offset:         72
        .size:           2
        .value_kind:     hidden_group_size_z
      - .offset:         74
        .size:           2
        .value_kind:     hidden_remainder_x
      - .offset:         76
        .size:           2
        .value_kind:     hidden_remainder_y
      - .offset:         78
        .size:           2
        .value_kind:     hidden_remainder_z
      - .offset:         96
        .size:           8
        .value_kind:     hidden_global_offset_x
      - .offset:         104
        .size:           8
        .value_kind:     hidden_global_offset_y
      - .offset:         112
        .size:           8
        .value_kind:     hidden_global_offset_z
      - .offset:         120
        .size:           2
        .value_kind:     hidden_grid_dims
    .group_segment_fixed_size: 0
    .kernarg_segment_align: 8
    .kernarg_segment_size: 312
    .language:       OpenCL C
    .language_version:
      - 2
      - 0
    .max_flat_workgroup_size: 1024
    .name:           _Z11fill_kernelI12hipblaslt_f8Z21hipblaslt_init_deviceIS0_Ev8ABC_dims24hipblaslt_initializationbPT_mmmmmEUlmE2_EvS5_mmT0_
    .private_segment_fixed_size: 0
    .sgpr_count:     26
    .sgpr_spill_count: 0
    .symbol:         _Z11fill_kernelI12hipblaslt_f8Z21hipblaslt_init_deviceIS0_Ev8ABC_dims24hipblaslt_initializationbPT_mmmmmEUlmE2_EvS5_mmT0_.kd
    .uniform_work_group_size: 1
    .uses_dynamic_stack: false
    .vgpr_count:     34
    .vgpr_spill_count: 0
    .wavefront_size: 32
  - .args:
      - .address_space:  global
        .offset:         0
        .size:           8
        .value_kind:     global_buffer
      - .offset:         8
        .size:           8
        .value_kind:     by_value
      - .offset:         16
        .size:           8
        .value_kind:     by_value
      - .offset:         24
        .size:           32
        .value_kind:     by_value
      - .offset:         56
        .size:           4
        .value_kind:     hidden_block_count_x
      - .offset:         60
        .size:           4
        .value_kind:     hidden_block_count_y
      - .offset:         64
        .size:           4
        .value_kind:     hidden_block_count_z
      - .offset:         68
        .size:           2
        .value_kind:     hidden_group_size_x
      - .offset:         70
        .size:           2
        .value_kind:     hidden_group_size_y
      - .offset:         72
        .size:           2
        .value_kind:     hidden_group_size_z
      - .offset:         74
        .size:           2
        .value_kind:     hidden_remainder_x
      - .offset:         76
        .size:           2
        .value_kind:     hidden_remainder_y
      - .offset:         78
        .size:           2
        .value_kind:     hidden_remainder_z
      - .offset:         96
        .size:           8
        .value_kind:     hidden_global_offset_x
      - .offset:         104
        .size:           8
        .value_kind:     hidden_global_offset_y
      - .offset:         112
        .size:           8
        .value_kind:     hidden_global_offset_z
      - .offset:         120
        .size:           2
        .value_kind:     hidden_grid_dims
    .group_segment_fixed_size: 0
    .kernarg_segment_align: 8
    .kernarg_segment_size: 312
    .language:       OpenCL C
    .language_version:
      - 2
      - 0
    .max_flat_workgroup_size: 1024
    .name:           _Z11fill_kernelI12hipblaslt_f8Z21hipblaslt_init_deviceIS0_Ev8ABC_dims24hipblaslt_initializationbPT_mmmmmEUlmE3_EvS5_mmT0_
    .private_segment_fixed_size: 0
    .sgpr_count:     26
    .sgpr_spill_count: 0
    .symbol:         _Z11fill_kernelI12hipblaslt_f8Z21hipblaslt_init_deviceIS0_Ev8ABC_dims24hipblaslt_initializationbPT_mmmmmEUlmE3_EvS5_mmT0_.kd
    .uniform_work_group_size: 1
    .uses_dynamic_stack: false
    .vgpr_count:     34
    .vgpr_spill_count: 0
    .wavefront_size: 32
  - .args:
      - .address_space:  global
        .offset:         0
        .size:           8
        .value_kind:     global_buffer
      - .offset:         8
        .size:           8
        .value_kind:     by_value
      - .offset:         16
        .size:           8
        .value_kind:     by_value
      - .offset:         24
        .size:           1
        .value_kind:     by_value
      - .offset:         32
        .size:           4
        .value_kind:     hidden_block_count_x
      - .offset:         36
        .size:           4
        .value_kind:     hidden_block_count_y
      - .offset:         40
        .size:           4
        .value_kind:     hidden_block_count_z
      - .offset:         44
        .size:           2
        .value_kind:     hidden_group_size_x
      - .offset:         46
        .size:           2
        .value_kind:     hidden_group_size_y
      - .offset:         48
        .size:           2
        .value_kind:     hidden_group_size_z
      - .offset:         50
        .size:           2
        .value_kind:     hidden_remainder_x
      - .offset:         52
        .size:           2
        .value_kind:     hidden_remainder_y
      - .offset:         54
        .size:           2
        .value_kind:     hidden_remainder_z
      - .offset:         72
        .size:           8
        .value_kind:     hidden_global_offset_x
      - .offset:         80
        .size:           8
        .value_kind:     hidden_global_offset_y
      - .offset:         88
        .size:           8
        .value_kind:     hidden_global_offset_z
      - .offset:         96
        .size:           2
        .value_kind:     hidden_grid_dims
    .group_segment_fixed_size: 0
    .kernarg_segment_align: 8
    .kernarg_segment_size: 288
    .language:       OpenCL C
    .language_version:
      - 2
      - 0
    .max_flat_workgroup_size: 1024
    .name:           _Z11fill_kernelI12hipblaslt_f8Z21hipblaslt_init_deviceIS0_Ev8ABC_dims24hipblaslt_initializationbPT_mmmmmEUlmE4_EvS5_mmT0_
    .private_segment_fixed_size: 0
    .sgpr_count:     12
    .sgpr_spill_count: 0
    .symbol:         _Z11fill_kernelI12hipblaslt_f8Z21hipblaslt_init_deviceIS0_Ev8ABC_dims24hipblaslt_initializationbPT_mmmmmEUlmE4_EvS5_mmT0_.kd
    .uniform_work_group_size: 1
    .uses_dynamic_stack: false
    .vgpr_count:     15
    .vgpr_spill_count: 0
    .wavefront_size: 32
  - .args:
      - .address_space:  global
        .offset:         0
        .size:           8
        .value_kind:     global_buffer
      - .offset:         8
        .size:           8
        .value_kind:     by_value
      - .offset:         16
        .size:           8
        .value_kind:     by_value
      - .offset:         24
        .size:           1
        .value_kind:     by_value
      - .offset:         32
        .size:           4
        .value_kind:     hidden_block_count_x
      - .offset:         36
        .size:           4
        .value_kind:     hidden_block_count_y
      - .offset:         40
        .size:           4
        .value_kind:     hidden_block_count_z
      - .offset:         44
        .size:           2
        .value_kind:     hidden_group_size_x
      - .offset:         46
        .size:           2
        .value_kind:     hidden_group_size_y
      - .offset:         48
        .size:           2
        .value_kind:     hidden_group_size_z
      - .offset:         50
        .size:           2
        .value_kind:     hidden_remainder_x
      - .offset:         52
        .size:           2
        .value_kind:     hidden_remainder_y
      - .offset:         54
        .size:           2
        .value_kind:     hidden_remainder_z
      - .offset:         72
        .size:           8
        .value_kind:     hidden_global_offset_x
      - .offset:         80
        .size:           8
        .value_kind:     hidden_global_offset_y
      - .offset:         88
        .size:           8
        .value_kind:     hidden_global_offset_z
      - .offset:         96
        .size:           2
        .value_kind:     hidden_grid_dims
    .group_segment_fixed_size: 0
    .kernarg_segment_align: 8
    .kernarg_segment_size: 288
    .language:       OpenCL C
    .language_version:
      - 2
      - 0
    .max_flat_workgroup_size: 1024
    .name:           _Z11fill_kernelI12hipblaslt_f8Z21hipblaslt_init_deviceIS0_Ev8ABC_dims24hipblaslt_initializationbPT_mmmmmEUlmE5_EvS5_mmT0_
    .private_segment_fixed_size: 0
    .sgpr_count:     10
    .sgpr_spill_count: 0
    .symbol:         _Z11fill_kernelI12hipblaslt_f8Z21hipblaslt_init_deviceIS0_Ev8ABC_dims24hipblaslt_initializationbPT_mmmmmEUlmE5_EvS5_mmT0_.kd
    .uniform_work_group_size: 1
    .uses_dynamic_stack: false
    .vgpr_count:     3
    .vgpr_spill_count: 0
    .wavefront_size: 32
  - .args:
      - .address_space:  global
        .offset:         0
        .size:           8
        .value_kind:     global_buffer
      - .offset:         8
        .size:           8
        .value_kind:     by_value
      - .offset:         16
        .size:           8
        .value_kind:     by_value
      - .offset:         24
        .size:           1
        .value_kind:     by_value
      - .offset:         32
        .size:           4
        .value_kind:     hidden_block_count_x
      - .offset:         36
        .size:           4
        .value_kind:     hidden_block_count_y
      - .offset:         40
        .size:           4
        .value_kind:     hidden_block_count_z
      - .offset:         44
        .size:           2
        .value_kind:     hidden_group_size_x
      - .offset:         46
        .size:           2
        .value_kind:     hidden_group_size_y
      - .offset:         48
        .size:           2
        .value_kind:     hidden_group_size_z
      - .offset:         50
        .size:           2
        .value_kind:     hidden_remainder_x
      - .offset:         52
        .size:           2
        .value_kind:     hidden_remainder_y
      - .offset:         54
        .size:           2
        .value_kind:     hidden_remainder_z
      - .offset:         72
        .size:           8
        .value_kind:     hidden_global_offset_x
      - .offset:         80
        .size:           8
        .value_kind:     hidden_global_offset_y
      - .offset:         88
        .size:           8
        .value_kind:     hidden_global_offset_z
      - .offset:         96
        .size:           2
        .value_kind:     hidden_grid_dims
    .group_segment_fixed_size: 0
    .kernarg_segment_align: 8
    .kernarg_segment_size: 288
    .language:       OpenCL C
    .language_version:
      - 2
      - 0
    .max_flat_workgroup_size: 1024
    .name:           _Z11fill_kernelI12hipblaslt_f8Z21hipblaslt_init_deviceIS0_Ev8ABC_dims24hipblaslt_initializationbPT_mmmmmEUlmE6_EvS5_mmT0_
    .private_segment_fixed_size: 0
    .sgpr_count:     10
    .sgpr_spill_count: 0
    .symbol:         _Z11fill_kernelI12hipblaslt_f8Z21hipblaslt_init_deviceIS0_Ev8ABC_dims24hipblaslt_initializationbPT_mmmmmEUlmE6_EvS5_mmT0_.kd
    .uniform_work_group_size: 1
    .uses_dynamic_stack: false
    .vgpr_count:     4
    .vgpr_spill_count: 0
    .wavefront_size: 32
  - .args:
      - .address_space:  global
        .offset:         0
        .size:           8
        .value_kind:     global_buffer
      - .offset:         8
        .size:           8
        .value_kind:     by_value
      - .offset:         16
        .size:           8
        .value_kind:     by_value
      - .offset:         24
        .size:           1
        .value_kind:     by_value
      - .offset:         32
        .size:           4
        .value_kind:     hidden_block_count_x
      - .offset:         36
        .size:           4
        .value_kind:     hidden_block_count_y
      - .offset:         40
        .size:           4
        .value_kind:     hidden_block_count_z
      - .offset:         44
        .size:           2
        .value_kind:     hidden_group_size_x
      - .offset:         46
        .size:           2
        .value_kind:     hidden_group_size_y
      - .offset:         48
        .size:           2
        .value_kind:     hidden_group_size_z
      - .offset:         50
        .size:           2
        .value_kind:     hidden_remainder_x
      - .offset:         52
        .size:           2
        .value_kind:     hidden_remainder_y
      - .offset:         54
        .size:           2
        .value_kind:     hidden_remainder_z
      - .offset:         72
        .size:           8
        .value_kind:     hidden_global_offset_x
      - .offset:         80
        .size:           8
        .value_kind:     hidden_global_offset_y
      - .offset:         88
        .size:           8
        .value_kind:     hidden_global_offset_z
      - .offset:         96
        .size:           2
        .value_kind:     hidden_grid_dims
    .group_segment_fixed_size: 0
    .kernarg_segment_align: 8
    .kernarg_segment_size: 288
    .language:       OpenCL C
    .language_version:
      - 2
      - 0
    .max_flat_workgroup_size: 1024
    .name:           _Z11fill_kernelI12hipblaslt_f8Z21hipblaslt_init_deviceIS0_Ev8ABC_dims24hipblaslt_initializationbPT_mmmmmEUlmE7_EvS5_mmT0_
    .private_segment_fixed_size: 0
    .sgpr_count:     12
    .sgpr_spill_count: 0
    .symbol:         _Z11fill_kernelI12hipblaslt_f8Z21hipblaslt_init_deviceIS0_Ev8ABC_dims24hipblaslt_initializationbPT_mmmmmEUlmE7_EvS5_mmT0_.kd
    .uniform_work_group_size: 1
    .uses_dynamic_stack: false
    .vgpr_count:     12
    .vgpr_spill_count: 0
    .wavefront_size: 32
  - .args:
      - .address_space:  global
        .offset:         0
        .size:           8
        .value_kind:     global_buffer
      - .offset:         8
        .size:           8
        .value_kind:     by_value
      - .offset:         16
        .size:           8
        .value_kind:     by_value
      - .offset:         24
        .size:           1
        .value_kind:     by_value
      - .offset:         32
        .size:           4
        .value_kind:     hidden_block_count_x
      - .offset:         36
        .size:           4
        .value_kind:     hidden_block_count_y
      - .offset:         40
        .size:           4
        .value_kind:     hidden_block_count_z
      - .offset:         44
        .size:           2
        .value_kind:     hidden_group_size_x
      - .offset:         46
        .size:           2
        .value_kind:     hidden_group_size_y
      - .offset:         48
        .size:           2
        .value_kind:     hidden_group_size_z
      - .offset:         50
        .size:           2
        .value_kind:     hidden_remainder_x
      - .offset:         52
        .size:           2
        .value_kind:     hidden_remainder_y
      - .offset:         54
        .size:           2
        .value_kind:     hidden_remainder_z
      - .offset:         72
        .size:           8
        .value_kind:     hidden_global_offset_x
      - .offset:         80
        .size:           8
        .value_kind:     hidden_global_offset_y
      - .offset:         88
        .size:           8
        .value_kind:     hidden_global_offset_z
      - .offset:         96
        .size:           2
        .value_kind:     hidden_grid_dims
    .group_segment_fixed_size: 0
    .kernarg_segment_align: 8
    .kernarg_segment_size: 288
    .language:       OpenCL C
    .language_version:
      - 2
      - 0
    .max_flat_workgroup_size: 1024
    .name:           _Z11fill_kernelI12hipblaslt_f8Z21hipblaslt_init_deviceIS0_Ev8ABC_dims24hipblaslt_initializationbPT_mmmmmEUlmE8_EvS5_mmT0_
    .private_segment_fixed_size: 0
    .sgpr_count:     10
    .sgpr_spill_count: 0
    .symbol:         _Z11fill_kernelI12hipblaslt_f8Z21hipblaslt_init_deviceIS0_Ev8ABC_dims24hipblaslt_initializationbPT_mmmmmEUlmE8_EvS5_mmT0_.kd
    .uniform_work_group_size: 1
    .uses_dynamic_stack: false
    .vgpr_count:     4
    .vgpr_spill_count: 0
    .wavefront_size: 32
  - .args:
      - .address_space:  global
        .offset:         0
        .size:           8
        .value_kind:     global_buffer
      - .offset:         8
        .size:           8
        .value_kind:     by_value
      - .offset:         16
        .size:           8
        .value_kind:     by_value
      - .offset:         24
        .size:           4
        .value_kind:     by_value
      - .offset:         32
        .size:           4
        .value_kind:     hidden_block_count_x
      - .offset:         36
        .size:           4
        .value_kind:     hidden_block_count_y
      - .offset:         40
        .size:           4
        .value_kind:     hidden_block_count_z
      - .offset:         44
        .size:           2
        .value_kind:     hidden_group_size_x
      - .offset:         46
        .size:           2
        .value_kind:     hidden_group_size_y
      - .offset:         48
        .size:           2
        .value_kind:     hidden_group_size_z
      - .offset:         50
        .size:           2
        .value_kind:     hidden_remainder_x
      - .offset:         52
        .size:           2
        .value_kind:     hidden_remainder_y
      - .offset:         54
        .size:           2
        .value_kind:     hidden_remainder_z
      - .offset:         72
        .size:           8
        .value_kind:     hidden_global_offset_x
      - .offset:         80
        .size:           8
        .value_kind:     hidden_global_offset_y
      - .offset:         88
        .size:           8
        .value_kind:     hidden_global_offset_z
      - .offset:         96
        .size:           2
        .value_kind:     hidden_grid_dims
    .group_segment_fixed_size: 0
    .kernarg_segment_align: 8
    .kernarg_segment_size: 288
    .language:       OpenCL C
    .language_version:
      - 2
      - 0
    .max_flat_workgroup_size: 1024
    .name:           _Z11fill_kernelI12hipblaslt_f8Z21hipblaslt_init_deviceIS0_Ev8ABC_dims24hipblaslt_initializationbPT_mmmmmEUlmE9_EvS5_mmT0_
    .private_segment_fixed_size: 0
    .sgpr_count:     12
    .sgpr_spill_count: 0
    .symbol:         _Z11fill_kernelI12hipblaslt_f8Z21hipblaslt_init_deviceIS0_Ev8ABC_dims24hipblaslt_initializationbPT_mmmmmEUlmE9_EvS5_mmT0_.kd
    .uniform_work_group_size: 1
    .uses_dynamic_stack: false
    .vgpr_count:     22
    .vgpr_spill_count: 0
    .wavefront_size: 32
  - .args:
      - .address_space:  global
        .offset:         0
        .size:           8
        .value_kind:     global_buffer
      - .offset:         8
        .size:           8
        .value_kind:     by_value
      - .offset:         16
        .size:           8
        .value_kind:     by_value
      - .offset:         24
        .size:           100
        .value_kind:     by_value
      - .offset:         128
        .size:           4
        .value_kind:     hidden_block_count_x
      - .offset:         132
        .size:           4
        .value_kind:     hidden_block_count_y
      - .offset:         136
        .size:           4
        .value_kind:     hidden_block_count_z
      - .offset:         140
        .size:           2
        .value_kind:     hidden_group_size_x
      - .offset:         142
        .size:           2
        .value_kind:     hidden_group_size_y
      - .offset:         144
        .size:           2
        .value_kind:     hidden_group_size_z
      - .offset:         146
        .size:           2
        .value_kind:     hidden_remainder_x
      - .offset:         148
        .size:           2
        .value_kind:     hidden_remainder_y
      - .offset:         150
        .size:           2
        .value_kind:     hidden_remainder_z
      - .offset:         168
        .size:           8
        .value_kind:     hidden_global_offset_x
      - .offset:         176
        .size:           8
        .value_kind:     hidden_global_offset_y
      - .offset:         184
        .size:           8
        .value_kind:     hidden_global_offset_z
      - .offset:         192
        .size:           2
        .value_kind:     hidden_grid_dims
    .group_segment_fixed_size: 0
    .kernarg_segment_align: 8
    .kernarg_segment_size: 384
    .language:       OpenCL C
    .language_version:
      - 2
      - 0
    .max_flat_workgroup_size: 1024
    .name:           _Z11fill_kernelI13hipblaslt_bf8Z21hipblaslt_init_deviceIS0_Ev8ABC_dims24hipblaslt_initializationbPT_mmmmmEUlmE_EvS5_mmT0_
    .private_segment_fixed_size: 0
    .sgpr_count:     10
    .sgpr_spill_count: 0
    .symbol:         _Z11fill_kernelI13hipblaslt_bf8Z21hipblaslt_init_deviceIS0_Ev8ABC_dims24hipblaslt_initializationbPT_mmmmmEUlmE_EvS5_mmT0_.kd
    .uniform_work_group_size: 1
    .uses_dynamic_stack: false
    .vgpr_count:     6
    .vgpr_spill_count: 0
    .wavefront_size: 32
  - .args:
      - .address_space:  global
        .offset:         0
        .size:           8
        .value_kind:     global_buffer
      - .offset:         8
        .size:           8
        .value_kind:     by_value
      - .offset:         16
        .size:           8
        .value_kind:     by_value
      - .offset:         24
        .size:           1
        .value_kind:     by_value
      - .offset:         32
        .size:           4
        .value_kind:     hidden_block_count_x
      - .offset:         36
        .size:           4
        .value_kind:     hidden_block_count_y
      - .offset:         40
        .size:           4
        .value_kind:     hidden_block_count_z
      - .offset:         44
        .size:           2
        .value_kind:     hidden_group_size_x
      - .offset:         46
        .size:           2
        .value_kind:     hidden_group_size_y
      - .offset:         48
        .size:           2
        .value_kind:     hidden_group_size_z
      - .offset:         50
        .size:           2
        .value_kind:     hidden_remainder_x
      - .offset:         52
        .size:           2
        .value_kind:     hidden_remainder_y
      - .offset:         54
        .size:           2
        .value_kind:     hidden_remainder_z
      - .offset:         72
        .size:           8
        .value_kind:     hidden_global_offset_x
      - .offset:         80
        .size:           8
        .value_kind:     hidden_global_offset_y
      - .offset:         88
        .size:           8
        .value_kind:     hidden_global_offset_z
      - .offset:         96
        .size:           2
        .value_kind:     hidden_grid_dims
    .group_segment_fixed_size: 0
    .kernarg_segment_align: 8
    .kernarg_segment_size: 288
    .language:       OpenCL C
    .language_version:
      - 2
      - 0
    .max_flat_workgroup_size: 1024
    .name:           _Z11fill_kernelI13hipblaslt_bf8Z21hipblaslt_init_deviceIS0_Ev8ABC_dims24hipblaslt_initializationbPT_mmmmmEUlmE0_EvS5_mmT0_
    .private_segment_fixed_size: 0
    .sgpr_count:     12
    .sgpr_spill_count: 0
    .symbol:         _Z11fill_kernelI13hipblaslt_bf8Z21hipblaslt_init_deviceIS0_Ev8ABC_dims24hipblaslt_initializationbPT_mmmmmEUlmE0_EvS5_mmT0_.kd
    .uniform_work_group_size: 1
    .uses_dynamic_stack: false
    .vgpr_count:     14
    .vgpr_spill_count: 0
    .wavefront_size: 32
  - .args:
      - .address_space:  global
        .offset:         0
        .size:           8
        .value_kind:     global_buffer
      - .offset:         8
        .size:           8
        .value_kind:     by_value
      - .offset:         16
        .size:           8
        .value_kind:     by_value
      - .offset:         24
        .size:           16
        .value_kind:     by_value
      - .offset:         40
        .size:           4
        .value_kind:     hidden_block_count_x
      - .offset:         44
        .size:           4
        .value_kind:     hidden_block_count_y
      - .offset:         48
        .size:           4
        .value_kind:     hidden_block_count_z
      - .offset:         52
        .size:           2
        .value_kind:     hidden_group_size_x
      - .offset:         54
        .size:           2
        .value_kind:     hidden_group_size_y
      - .offset:         56
        .size:           2
        .value_kind:     hidden_group_size_z
      - .offset:         58
        .size:           2
        .value_kind:     hidden_remainder_x
      - .offset:         60
        .size:           2
        .value_kind:     hidden_remainder_y
      - .offset:         62
        .size:           2
        .value_kind:     hidden_remainder_z
      - .offset:         80
        .size:           8
        .value_kind:     hidden_global_offset_x
      - .offset:         88
        .size:           8
        .value_kind:     hidden_global_offset_y
      - .offset:         96
        .size:           8
        .value_kind:     hidden_global_offset_z
      - .offset:         104
        .size:           2
        .value_kind:     hidden_grid_dims
    .group_segment_fixed_size: 0
    .kernarg_segment_align: 8
    .kernarg_segment_size: 296
    .language:       OpenCL C
    .language_version:
      - 2
      - 0
    .max_flat_workgroup_size: 1024
    .name:           _Z11fill_kernelI13hipblaslt_bf8Z21hipblaslt_init_deviceIS0_Ev8ABC_dims24hipblaslt_initializationbPT_mmmmmEUlmE1_EvS5_mmT0_
    .private_segment_fixed_size: 0
    .sgpr_count:     22
    .sgpr_spill_count: 0
    .symbol:         _Z11fill_kernelI13hipblaslt_bf8Z21hipblaslt_init_deviceIS0_Ev8ABC_dims24hipblaslt_initializationbPT_mmmmmEUlmE1_EvS5_mmT0_.kd
    .uniform_work_group_size: 1
    .uses_dynamic_stack: false
    .vgpr_count:     16
    .vgpr_spill_count: 0
    .wavefront_size: 32
  - .args:
      - .address_space:  global
        .offset:         0
        .size:           8
        .value_kind:     global_buffer
      - .offset:         8
        .size:           8
        .value_kind:     by_value
      - .offset:         16
        .size:           8
        .value_kind:     by_value
      - .offset:         24
        .size:           32
        .value_kind:     by_value
      - .offset:         56
        .size:           4
        .value_kind:     hidden_block_count_x
      - .offset:         60
        .size:           4
        .value_kind:     hidden_block_count_y
      - .offset:         64
        .size:           4
        .value_kind:     hidden_block_count_z
      - .offset:         68
        .size:           2
        .value_kind:     hidden_group_size_x
      - .offset:         70
        .size:           2
        .value_kind:     hidden_group_size_y
      - .offset:         72
        .size:           2
        .value_kind:     hidden_group_size_z
      - .offset:         74
        .size:           2
        .value_kind:     hidden_remainder_x
      - .offset:         76
        .size:           2
        .value_kind:     hidden_remainder_y
      - .offset:         78
        .size:           2
        .value_kind:     hidden_remainder_z
      - .offset:         96
        .size:           8
        .value_kind:     hidden_global_offset_x
      - .offset:         104
        .size:           8
        .value_kind:     hidden_global_offset_y
      - .offset:         112
        .size:           8
        .value_kind:     hidden_global_offset_z
      - .offset:         120
        .size:           2
        .value_kind:     hidden_grid_dims
    .group_segment_fixed_size: 0
    .kernarg_segment_align: 8
    .kernarg_segment_size: 312
    .language:       OpenCL C
    .language_version:
      - 2
      - 0
    .max_flat_workgroup_size: 1024
    .name:           _Z11fill_kernelI13hipblaslt_bf8Z21hipblaslt_init_deviceIS0_Ev8ABC_dims24hipblaslt_initializationbPT_mmmmmEUlmE2_EvS5_mmT0_
    .private_segment_fixed_size: 0
    .sgpr_count:     26
    .sgpr_spill_count: 0
    .symbol:         _Z11fill_kernelI13hipblaslt_bf8Z21hipblaslt_init_deviceIS0_Ev8ABC_dims24hipblaslt_initializationbPT_mmmmmEUlmE2_EvS5_mmT0_.kd
    .uniform_work_group_size: 1
    .uses_dynamic_stack: false
    .vgpr_count:     34
    .vgpr_spill_count: 0
    .wavefront_size: 32
  - .args:
      - .address_space:  global
        .offset:         0
        .size:           8
        .value_kind:     global_buffer
      - .offset:         8
        .size:           8
        .value_kind:     by_value
      - .offset:         16
        .size:           8
        .value_kind:     by_value
      - .offset:         24
        .size:           32
        .value_kind:     by_value
      - .offset:         56
        .size:           4
        .value_kind:     hidden_block_count_x
      - .offset:         60
        .size:           4
        .value_kind:     hidden_block_count_y
      - .offset:         64
        .size:           4
        .value_kind:     hidden_block_count_z
      - .offset:         68
        .size:           2
        .value_kind:     hidden_group_size_x
      - .offset:         70
        .size:           2
        .value_kind:     hidden_group_size_y
      - .offset:         72
        .size:           2
        .value_kind:     hidden_group_size_z
      - .offset:         74
        .size:           2
        .value_kind:     hidden_remainder_x
      - .offset:         76
        .size:           2
        .value_kind:     hidden_remainder_y
      - .offset:         78
        .size:           2
        .value_kind:     hidden_remainder_z
      - .offset:         96
        .size:           8
        .value_kind:     hidden_global_offset_x
      - .offset:         104
        .size:           8
        .value_kind:     hidden_global_offset_y
      - .offset:         112
        .size:           8
        .value_kind:     hidden_global_offset_z
      - .offset:         120
        .size:           2
        .value_kind:     hidden_grid_dims
    .group_segment_fixed_size: 0
    .kernarg_segment_align: 8
    .kernarg_segment_size: 312
    .language:       OpenCL C
    .language_version:
      - 2
      - 0
    .max_flat_workgroup_size: 1024
    .name:           _Z11fill_kernelI13hipblaslt_bf8Z21hipblaslt_init_deviceIS0_Ev8ABC_dims24hipblaslt_initializationbPT_mmmmmEUlmE3_EvS5_mmT0_
    .private_segment_fixed_size: 0
    .sgpr_count:     26
    .sgpr_spill_count: 0
    .symbol:         _Z11fill_kernelI13hipblaslt_bf8Z21hipblaslt_init_deviceIS0_Ev8ABC_dims24hipblaslt_initializationbPT_mmmmmEUlmE3_EvS5_mmT0_.kd
    .uniform_work_group_size: 1
    .uses_dynamic_stack: false
    .vgpr_count:     34
    .vgpr_spill_count: 0
    .wavefront_size: 32
  - .args:
      - .address_space:  global
        .offset:         0
        .size:           8
        .value_kind:     global_buffer
      - .offset:         8
        .size:           8
        .value_kind:     by_value
      - .offset:         16
        .size:           8
        .value_kind:     by_value
      - .offset:         24
        .size:           1
        .value_kind:     by_value
      - .offset:         32
        .size:           4
        .value_kind:     hidden_block_count_x
      - .offset:         36
        .size:           4
        .value_kind:     hidden_block_count_y
      - .offset:         40
        .size:           4
        .value_kind:     hidden_block_count_z
      - .offset:         44
        .size:           2
        .value_kind:     hidden_group_size_x
      - .offset:         46
        .size:           2
        .value_kind:     hidden_group_size_y
      - .offset:         48
        .size:           2
        .value_kind:     hidden_group_size_z
      - .offset:         50
        .size:           2
        .value_kind:     hidden_remainder_x
      - .offset:         52
        .size:           2
        .value_kind:     hidden_remainder_y
      - .offset:         54
        .size:           2
        .value_kind:     hidden_remainder_z
      - .offset:         72
        .size:           8
        .value_kind:     hidden_global_offset_x
      - .offset:         80
        .size:           8
        .value_kind:     hidden_global_offset_y
      - .offset:         88
        .size:           8
        .value_kind:     hidden_global_offset_z
      - .offset:         96
        .size:           2
        .value_kind:     hidden_grid_dims
    .group_segment_fixed_size: 0
    .kernarg_segment_align: 8
    .kernarg_segment_size: 288
    .language:       OpenCL C
    .language_version:
      - 2
      - 0
    .max_flat_workgroup_size: 1024
    .name:           _Z11fill_kernelI13hipblaslt_bf8Z21hipblaslt_init_deviceIS0_Ev8ABC_dims24hipblaslt_initializationbPT_mmmmmEUlmE4_EvS5_mmT0_
    .private_segment_fixed_size: 0
    .sgpr_count:     12
    .sgpr_spill_count: 0
    .symbol:         _Z11fill_kernelI13hipblaslt_bf8Z21hipblaslt_init_deviceIS0_Ev8ABC_dims24hipblaslt_initializationbPT_mmmmmEUlmE4_EvS5_mmT0_.kd
    .uniform_work_group_size: 1
    .uses_dynamic_stack: false
    .vgpr_count:     15
    .vgpr_spill_count: 0
    .wavefront_size: 32
  - .args:
      - .address_space:  global
        .offset:         0
        .size:           8
        .value_kind:     global_buffer
      - .offset:         8
        .size:           8
        .value_kind:     by_value
      - .offset:         16
        .size:           8
        .value_kind:     by_value
      - .offset:         24
        .size:           1
        .value_kind:     by_value
      - .offset:         32
        .size:           4
        .value_kind:     hidden_block_count_x
      - .offset:         36
        .size:           4
        .value_kind:     hidden_block_count_y
      - .offset:         40
        .size:           4
        .value_kind:     hidden_block_count_z
      - .offset:         44
        .size:           2
        .value_kind:     hidden_group_size_x
      - .offset:         46
        .size:           2
        .value_kind:     hidden_group_size_y
      - .offset:         48
        .size:           2
        .value_kind:     hidden_group_size_z
      - .offset:         50
        .size:           2
        .value_kind:     hidden_remainder_x
      - .offset:         52
        .size:           2
        .value_kind:     hidden_remainder_y
      - .offset:         54
        .size:           2
        .value_kind:     hidden_remainder_z
      - .offset:         72
        .size:           8
        .value_kind:     hidden_global_offset_x
      - .offset:         80
        .size:           8
        .value_kind:     hidden_global_offset_y
      - .offset:         88
        .size:           8
        .value_kind:     hidden_global_offset_z
      - .offset:         96
        .size:           2
        .value_kind:     hidden_grid_dims
    .group_segment_fixed_size: 0
    .kernarg_segment_align: 8
    .kernarg_segment_size: 288
    .language:       OpenCL C
    .language_version:
      - 2
      - 0
    .max_flat_workgroup_size: 1024
    .name:           _Z11fill_kernelI13hipblaslt_bf8Z21hipblaslt_init_deviceIS0_Ev8ABC_dims24hipblaslt_initializationbPT_mmmmmEUlmE5_EvS5_mmT0_
    .private_segment_fixed_size: 0
    .sgpr_count:     10
    .sgpr_spill_count: 0
    .symbol:         _Z11fill_kernelI13hipblaslt_bf8Z21hipblaslt_init_deviceIS0_Ev8ABC_dims24hipblaslt_initializationbPT_mmmmmEUlmE5_EvS5_mmT0_.kd
    .uniform_work_group_size: 1
    .uses_dynamic_stack: false
    .vgpr_count:     3
    .vgpr_spill_count: 0
    .wavefront_size: 32
  - .args:
      - .address_space:  global
        .offset:         0
        .size:           8
        .value_kind:     global_buffer
      - .offset:         8
        .size:           8
        .value_kind:     by_value
      - .offset:         16
        .size:           8
        .value_kind:     by_value
      - .offset:         24
        .size:           1
        .value_kind:     by_value
      - .offset:         32
        .size:           4
        .value_kind:     hidden_block_count_x
      - .offset:         36
        .size:           4
        .value_kind:     hidden_block_count_y
      - .offset:         40
        .size:           4
        .value_kind:     hidden_block_count_z
      - .offset:         44
        .size:           2
        .value_kind:     hidden_group_size_x
      - .offset:         46
        .size:           2
        .value_kind:     hidden_group_size_y
      - .offset:         48
        .size:           2
        .value_kind:     hidden_group_size_z
      - .offset:         50
        .size:           2
        .value_kind:     hidden_remainder_x
      - .offset:         52
        .size:           2
        .value_kind:     hidden_remainder_y
      - .offset:         54
        .size:           2
        .value_kind:     hidden_remainder_z
      - .offset:         72
        .size:           8
        .value_kind:     hidden_global_offset_x
      - .offset:         80
        .size:           8
        .value_kind:     hidden_global_offset_y
      - .offset:         88
        .size:           8
        .value_kind:     hidden_global_offset_z
      - .offset:         96
        .size:           2
        .value_kind:     hidden_grid_dims
    .group_segment_fixed_size: 0
    .kernarg_segment_align: 8
    .kernarg_segment_size: 288
    .language:       OpenCL C
    .language_version:
      - 2
      - 0
    .max_flat_workgroup_size: 1024
    .name:           _Z11fill_kernelI13hipblaslt_bf8Z21hipblaslt_init_deviceIS0_Ev8ABC_dims24hipblaslt_initializationbPT_mmmmmEUlmE6_EvS5_mmT0_
    .private_segment_fixed_size: 0
    .sgpr_count:     10
    .sgpr_spill_count: 0
    .symbol:         _Z11fill_kernelI13hipblaslt_bf8Z21hipblaslt_init_deviceIS0_Ev8ABC_dims24hipblaslt_initializationbPT_mmmmmEUlmE6_EvS5_mmT0_.kd
    .uniform_work_group_size: 1
    .uses_dynamic_stack: false
    .vgpr_count:     3
    .vgpr_spill_count: 0
    .wavefront_size: 32
  - .args:
      - .address_space:  global
        .offset:         0
        .size:           8
        .value_kind:     global_buffer
      - .offset:         8
        .size:           8
        .value_kind:     by_value
      - .offset:         16
        .size:           8
        .value_kind:     by_value
      - .offset:         24
        .size:           1
        .value_kind:     by_value
      - .offset:         32
        .size:           4
        .value_kind:     hidden_block_count_x
      - .offset:         36
        .size:           4
        .value_kind:     hidden_block_count_y
      - .offset:         40
        .size:           4
        .value_kind:     hidden_block_count_z
      - .offset:         44
        .size:           2
        .value_kind:     hidden_group_size_x
      - .offset:         46
        .size:           2
        .value_kind:     hidden_group_size_y
      - .offset:         48
        .size:           2
        .value_kind:     hidden_group_size_z
      - .offset:         50
        .size:           2
        .value_kind:     hidden_remainder_x
      - .offset:         52
        .size:           2
        .value_kind:     hidden_remainder_y
      - .offset:         54
        .size:           2
        .value_kind:     hidden_remainder_z
      - .offset:         72
        .size:           8
        .value_kind:     hidden_global_offset_x
      - .offset:         80
        .size:           8
        .value_kind:     hidden_global_offset_y
      - .offset:         88
        .size:           8
        .value_kind:     hidden_global_offset_z
      - .offset:         96
        .size:           2
        .value_kind:     hidden_grid_dims
    .group_segment_fixed_size: 0
    .kernarg_segment_align: 8
    .kernarg_segment_size: 288
    .language:       OpenCL C
    .language_version:
      - 2
      - 0
    .max_flat_workgroup_size: 1024
    .name:           _Z11fill_kernelI13hipblaslt_bf8Z21hipblaslt_init_deviceIS0_Ev8ABC_dims24hipblaslt_initializationbPT_mmmmmEUlmE7_EvS5_mmT0_
    .private_segment_fixed_size: 0
    .sgpr_count:     12
    .sgpr_spill_count: 0
    .symbol:         _Z11fill_kernelI13hipblaslt_bf8Z21hipblaslt_init_deviceIS0_Ev8ABC_dims24hipblaslt_initializationbPT_mmmmmEUlmE7_EvS5_mmT0_.kd
    .uniform_work_group_size: 1
    .uses_dynamic_stack: false
    .vgpr_count:     14
    .vgpr_spill_count: 0
    .wavefront_size: 32
  - .args:
      - .address_space:  global
        .offset:         0
        .size:           8
        .value_kind:     global_buffer
      - .offset:         8
        .size:           8
        .value_kind:     by_value
      - .offset:         16
        .size:           8
        .value_kind:     by_value
      - .offset:         24
        .size:           1
        .value_kind:     by_value
      - .offset:         32
        .size:           4
        .value_kind:     hidden_block_count_x
      - .offset:         36
        .size:           4
        .value_kind:     hidden_block_count_y
      - .offset:         40
        .size:           4
        .value_kind:     hidden_block_count_z
      - .offset:         44
        .size:           2
        .value_kind:     hidden_group_size_x
      - .offset:         46
        .size:           2
        .value_kind:     hidden_group_size_y
      - .offset:         48
        .size:           2
        .value_kind:     hidden_group_size_z
      - .offset:         50
        .size:           2
        .value_kind:     hidden_remainder_x
      - .offset:         52
        .size:           2
        .value_kind:     hidden_remainder_y
      - .offset:         54
        .size:           2
        .value_kind:     hidden_remainder_z
      - .offset:         72
        .size:           8
        .value_kind:     hidden_global_offset_x
      - .offset:         80
        .size:           8
        .value_kind:     hidden_global_offset_y
      - .offset:         88
        .size:           8
        .value_kind:     hidden_global_offset_z
      - .offset:         96
        .size:           2
        .value_kind:     hidden_grid_dims
    .group_segment_fixed_size: 0
    .kernarg_segment_align: 8
    .kernarg_segment_size: 288
    .language:       OpenCL C
    .language_version:
      - 2
      - 0
    .max_flat_workgroup_size: 1024
    .name:           _Z11fill_kernelI13hipblaslt_bf8Z21hipblaslt_init_deviceIS0_Ev8ABC_dims24hipblaslt_initializationbPT_mmmmmEUlmE8_EvS5_mmT0_
    .private_segment_fixed_size: 0
    .sgpr_count:     10
    .sgpr_spill_count: 0
    .symbol:         _Z11fill_kernelI13hipblaslt_bf8Z21hipblaslt_init_deviceIS0_Ev8ABC_dims24hipblaslt_initializationbPT_mmmmmEUlmE8_EvS5_mmT0_.kd
    .uniform_work_group_size: 1
    .uses_dynamic_stack: false
    .vgpr_count:     4
    .vgpr_spill_count: 0
    .wavefront_size: 32
  - .args:
      - .address_space:  global
        .offset:         0
        .size:           8
        .value_kind:     global_buffer
      - .offset:         8
        .size:           8
        .value_kind:     by_value
      - .offset:         16
        .size:           8
        .value_kind:     by_value
      - .offset:         24
        .size:           4
        .value_kind:     by_value
      - .offset:         32
        .size:           4
        .value_kind:     hidden_block_count_x
      - .offset:         36
        .size:           4
        .value_kind:     hidden_block_count_y
      - .offset:         40
        .size:           4
        .value_kind:     hidden_block_count_z
      - .offset:         44
        .size:           2
        .value_kind:     hidden_group_size_x
      - .offset:         46
        .size:           2
        .value_kind:     hidden_group_size_y
      - .offset:         48
        .size:           2
        .value_kind:     hidden_group_size_z
      - .offset:         50
        .size:           2
        .value_kind:     hidden_remainder_x
      - .offset:         52
        .size:           2
        .value_kind:     hidden_remainder_y
      - .offset:         54
        .size:           2
        .value_kind:     hidden_remainder_z
      - .offset:         72
        .size:           8
        .value_kind:     hidden_global_offset_x
      - .offset:         80
        .size:           8
        .value_kind:     hidden_global_offset_y
      - .offset:         88
        .size:           8
        .value_kind:     hidden_global_offset_z
      - .offset:         96
        .size:           2
        .value_kind:     hidden_grid_dims
    .group_segment_fixed_size: 0
    .kernarg_segment_align: 8
    .kernarg_segment_size: 288
    .language:       OpenCL C
    .language_version:
      - 2
      - 0
    .max_flat_workgroup_size: 1024
    .name:           _Z11fill_kernelI13hipblaslt_bf8Z21hipblaslt_init_deviceIS0_Ev8ABC_dims24hipblaslt_initializationbPT_mmmmmEUlmE9_EvS5_mmT0_
    .private_segment_fixed_size: 0
    .sgpr_count:     12
    .sgpr_spill_count: 0
    .symbol:         _Z11fill_kernelI13hipblaslt_bf8Z21hipblaslt_init_deviceIS0_Ev8ABC_dims24hipblaslt_initializationbPT_mmmmmEUlmE9_EvS5_mmT0_.kd
    .uniform_work_group_size: 1
    .uses_dynamic_stack: false
    .vgpr_count:     22
    .vgpr_spill_count: 0
    .wavefront_size: 32
  - .args:
      - .address_space:  global
        .offset:         0
        .size:           8
        .value_kind:     global_buffer
      - .offset:         8
        .size:           8
        .value_kind:     by_value
      - .offset:         16
        .size:           8
        .value_kind:     by_value
      - .offset:         24
        .size:           400
        .value_kind:     by_value
      - .offset:         424
        .size:           4
        .value_kind:     hidden_block_count_x
      - .offset:         428
        .size:           4
        .value_kind:     hidden_block_count_y
      - .offset:         432
        .size:           4
        .value_kind:     hidden_block_count_z
      - .offset:         436
        .size:           2
        .value_kind:     hidden_group_size_x
      - .offset:         438
        .size:           2
        .value_kind:     hidden_group_size_y
      - .offset:         440
        .size:           2
        .value_kind:     hidden_group_size_z
      - .offset:         442
        .size:           2
        .value_kind:     hidden_remainder_x
      - .offset:         444
        .size:           2
        .value_kind:     hidden_remainder_y
      - .offset:         446
        .size:           2
        .value_kind:     hidden_remainder_z
      - .offset:         464
        .size:           8
        .value_kind:     hidden_global_offset_x
      - .offset:         472
        .size:           8
        .value_kind:     hidden_global_offset_y
      - .offset:         480
        .size:           8
        .value_kind:     hidden_global_offset_z
      - .offset:         488
        .size:           2
        .value_kind:     hidden_grid_dims
    .group_segment_fixed_size: 0
    .kernarg_segment_align: 8
    .kernarg_segment_size: 680
    .language:       OpenCL C
    .language_version:
      - 2
      - 0
    .max_flat_workgroup_size: 1024
    .name:           _Z11fill_kernelIiZ21hipblaslt_init_deviceIiEv8ABC_dims24hipblaslt_initializationbPT_mmmmmEUlmE_EvS4_mmT0_
    .private_segment_fixed_size: 0
    .sgpr_count:     10
    .sgpr_spill_count: 0
    .symbol:         _Z11fill_kernelIiZ21hipblaslt_init_deviceIiEv8ABC_dims24hipblaslt_initializationbPT_mmmmmEUlmE_EvS4_mmT0_.kd
    .uniform_work_group_size: 1
    .uses_dynamic_stack: false
    .vgpr_count:     6
    .vgpr_spill_count: 0
    .wavefront_size: 32
  - .args:
      - .address_space:  global
        .offset:         0
        .size:           8
        .value_kind:     global_buffer
      - .offset:         8
        .size:           8
        .value_kind:     by_value
      - .offset:         16
        .size:           8
        .value_kind:     by_value
      - .offset:         24
        .size:           1
        .value_kind:     by_value
      - .offset:         32
        .size:           4
        .value_kind:     hidden_block_count_x
      - .offset:         36
        .size:           4
        .value_kind:     hidden_block_count_y
      - .offset:         40
        .size:           4
        .value_kind:     hidden_block_count_z
      - .offset:         44
        .size:           2
        .value_kind:     hidden_group_size_x
      - .offset:         46
        .size:           2
        .value_kind:     hidden_group_size_y
      - .offset:         48
        .size:           2
        .value_kind:     hidden_group_size_z
      - .offset:         50
        .size:           2
        .value_kind:     hidden_remainder_x
      - .offset:         52
        .size:           2
        .value_kind:     hidden_remainder_y
      - .offset:         54
        .size:           2
        .value_kind:     hidden_remainder_z
      - .offset:         72
        .size:           8
        .value_kind:     hidden_global_offset_x
      - .offset:         80
        .size:           8
        .value_kind:     hidden_global_offset_y
      - .offset:         88
        .size:           8
        .value_kind:     hidden_global_offset_z
      - .offset:         96
        .size:           2
        .value_kind:     hidden_grid_dims
    .group_segment_fixed_size: 0
    .kernarg_segment_align: 8
    .kernarg_segment_size: 288
    .language:       OpenCL C
    .language_version:
      - 2
      - 0
    .max_flat_workgroup_size: 1024
    .name:           _Z11fill_kernelIiZ21hipblaslt_init_deviceIiEv8ABC_dims24hipblaslt_initializationbPT_mmmmmEUlmE0_EvS4_mmT0_
    .private_segment_fixed_size: 0
    .sgpr_count:     10
    .sgpr_spill_count: 0
    .symbol:         _Z11fill_kernelIiZ21hipblaslt_init_deviceIiEv8ABC_dims24hipblaslt_initializationbPT_mmmmmEUlmE0_EvS4_mmT0_.kd
    .uniform_work_group_size: 1
    .uses_dynamic_stack: false
    .vgpr_count:     6
    .vgpr_spill_count: 0
    .wavefront_size: 32
  - .args:
      - .address_space:  global
        .offset:         0
        .size:           8
        .value_kind:     global_buffer
      - .offset:         8
        .size:           8
        .value_kind:     by_value
      - .offset:         16
        .size:           8
        .value_kind:     by_value
      - .offset:         24
        .size:           16
        .value_kind:     by_value
      - .offset:         40
        .size:           4
        .value_kind:     hidden_block_count_x
      - .offset:         44
        .size:           4
        .value_kind:     hidden_block_count_y
      - .offset:         48
        .size:           4
        .value_kind:     hidden_block_count_z
      - .offset:         52
        .size:           2
        .value_kind:     hidden_group_size_x
      - .offset:         54
        .size:           2
        .value_kind:     hidden_group_size_y
      - .offset:         56
        .size:           2
        .value_kind:     hidden_group_size_z
      - .offset:         58
        .size:           2
        .value_kind:     hidden_remainder_x
      - .offset:         60
        .size:           2
        .value_kind:     hidden_remainder_y
      - .offset:         62
        .size:           2
        .value_kind:     hidden_remainder_z
      - .offset:         80
        .size:           8
        .value_kind:     hidden_global_offset_x
      - .offset:         88
        .size:           8
        .value_kind:     hidden_global_offset_y
      - .offset:         96
        .size:           8
        .value_kind:     hidden_global_offset_z
      - .offset:         104
        .size:           2
        .value_kind:     hidden_grid_dims
    .group_segment_fixed_size: 0
    .kernarg_segment_align: 8
    .kernarg_segment_size: 296
    .language:       OpenCL C
    .language_version:
      - 2
      - 0
    .max_flat_workgroup_size: 1024
    .name:           _Z11fill_kernelIiZ21hipblaslt_init_deviceIiEv8ABC_dims24hipblaslt_initializationbPT_mmmmmEUlmE1_EvS4_mmT0_
    .private_segment_fixed_size: 0
    .sgpr_count:     22
    .sgpr_spill_count: 0
    .symbol:         _Z11fill_kernelIiZ21hipblaslt_init_deviceIiEv8ABC_dims24hipblaslt_initializationbPT_mmmmmEUlmE1_EvS4_mmT0_.kd
    .uniform_work_group_size: 1
    .uses_dynamic_stack: false
    .vgpr_count:     14
    .vgpr_spill_count: 0
    .wavefront_size: 32
  - .args:
      - .address_space:  global
        .offset:         0
        .size:           8
        .value_kind:     global_buffer
      - .offset:         8
        .size:           8
        .value_kind:     by_value
      - .offset:         16
        .size:           8
        .value_kind:     by_value
      - .offset:         24
        .size:           32
        .value_kind:     by_value
      - .offset:         56
        .size:           4
        .value_kind:     hidden_block_count_x
      - .offset:         60
        .size:           4
        .value_kind:     hidden_block_count_y
      - .offset:         64
        .size:           4
        .value_kind:     hidden_block_count_z
      - .offset:         68
        .size:           2
        .value_kind:     hidden_group_size_x
      - .offset:         70
        .size:           2
        .value_kind:     hidden_group_size_y
      - .offset:         72
        .size:           2
        .value_kind:     hidden_group_size_z
      - .offset:         74
        .size:           2
        .value_kind:     hidden_remainder_x
      - .offset:         76
        .size:           2
        .value_kind:     hidden_remainder_y
      - .offset:         78
        .size:           2
        .value_kind:     hidden_remainder_z
      - .offset:         96
        .size:           8
        .value_kind:     hidden_global_offset_x
      - .offset:         104
        .size:           8
        .value_kind:     hidden_global_offset_y
      - .offset:         112
        .size:           8
        .value_kind:     hidden_global_offset_z
      - .offset:         120
        .size:           2
        .value_kind:     hidden_grid_dims
    .group_segment_fixed_size: 0
    .kernarg_segment_align: 8
    .kernarg_segment_size: 312
    .language:       OpenCL C
    .language_version:
      - 2
      - 0
    .max_flat_workgroup_size: 1024
    .name:           _Z11fill_kernelIiZ21hipblaslt_init_deviceIiEv8ABC_dims24hipblaslt_initializationbPT_mmmmmEUlmE2_EvS4_mmT0_
    .private_segment_fixed_size: 0
    .sgpr_count:     26
    .sgpr_spill_count: 0
    .symbol:         _Z11fill_kernelIiZ21hipblaslt_init_deviceIiEv8ABC_dims24hipblaslt_initializationbPT_mmmmmEUlmE2_EvS4_mmT0_.kd
    .uniform_work_group_size: 1
    .uses_dynamic_stack: false
    .vgpr_count:     34
    .vgpr_spill_count: 0
    .wavefront_size: 32
  - .args:
      - .address_space:  global
        .offset:         0
        .size:           8
        .value_kind:     global_buffer
      - .offset:         8
        .size:           8
        .value_kind:     by_value
      - .offset:         16
        .size:           8
        .value_kind:     by_value
      - .offset:         24
        .size:           32
        .value_kind:     by_value
      - .offset:         56
        .size:           4
        .value_kind:     hidden_block_count_x
      - .offset:         60
        .size:           4
        .value_kind:     hidden_block_count_y
      - .offset:         64
        .size:           4
        .value_kind:     hidden_block_count_z
      - .offset:         68
        .size:           2
        .value_kind:     hidden_group_size_x
      - .offset:         70
        .size:           2
        .value_kind:     hidden_group_size_y
      - .offset:         72
        .size:           2
        .value_kind:     hidden_group_size_z
      - .offset:         74
        .size:           2
        .value_kind:     hidden_remainder_x
      - .offset:         76
        .size:           2
        .value_kind:     hidden_remainder_y
      - .offset:         78
        .size:           2
        .value_kind:     hidden_remainder_z
      - .offset:         96
        .size:           8
        .value_kind:     hidden_global_offset_x
      - .offset:         104
        .size:           8
        .value_kind:     hidden_global_offset_y
      - .offset:         112
        .size:           8
        .value_kind:     hidden_global_offset_z
      - .offset:         120
        .size:           2
        .value_kind:     hidden_grid_dims
    .group_segment_fixed_size: 0
    .kernarg_segment_align: 8
    .kernarg_segment_size: 312
    .language:       OpenCL C
    .language_version:
      - 2
      - 0
    .max_flat_workgroup_size: 1024
    .name:           _Z11fill_kernelIiZ21hipblaslt_init_deviceIiEv8ABC_dims24hipblaslt_initializationbPT_mmmmmEUlmE3_EvS4_mmT0_
    .private_segment_fixed_size: 0
    .sgpr_count:     26
    .sgpr_spill_count: 0
    .symbol:         _Z11fill_kernelIiZ21hipblaslt_init_deviceIiEv8ABC_dims24hipblaslt_initializationbPT_mmmmmEUlmE3_EvS4_mmT0_.kd
    .uniform_work_group_size: 1
    .uses_dynamic_stack: false
    .vgpr_count:     34
    .vgpr_spill_count: 0
    .wavefront_size: 32
  - .args:
      - .address_space:  global
        .offset:         0
        .size:           8
        .value_kind:     global_buffer
      - .offset:         8
        .size:           8
        .value_kind:     by_value
      - .offset:         16
        .size:           8
        .value_kind:     by_value
      - .offset:         24
        .size:           1
        .value_kind:     by_value
      - .offset:         32
        .size:           4
        .value_kind:     hidden_block_count_x
      - .offset:         36
        .size:           4
        .value_kind:     hidden_block_count_y
      - .offset:         40
        .size:           4
        .value_kind:     hidden_block_count_z
      - .offset:         44
        .size:           2
        .value_kind:     hidden_group_size_x
      - .offset:         46
        .size:           2
        .value_kind:     hidden_group_size_y
      - .offset:         48
        .size:           2
        .value_kind:     hidden_group_size_z
      - .offset:         50
        .size:           2
        .value_kind:     hidden_remainder_x
      - .offset:         52
        .size:           2
        .value_kind:     hidden_remainder_y
      - .offset:         54
        .size:           2
        .value_kind:     hidden_remainder_z
      - .offset:         72
        .size:           8
        .value_kind:     hidden_global_offset_x
      - .offset:         80
        .size:           8
        .value_kind:     hidden_global_offset_y
      - .offset:         88
        .size:           8
        .value_kind:     hidden_global_offset_z
      - .offset:         96
        .size:           2
        .value_kind:     hidden_grid_dims
    .group_segment_fixed_size: 0
    .kernarg_segment_align: 8
    .kernarg_segment_size: 288
    .language:       OpenCL C
    .language_version:
      - 2
      - 0
    .max_flat_workgroup_size: 1024
    .name:           _Z11fill_kernelIiZ21hipblaslt_init_deviceIiEv8ABC_dims24hipblaslt_initializationbPT_mmmmmEUlmE4_EvS4_mmT0_
    .private_segment_fixed_size: 0
    .sgpr_count:     12
    .sgpr_spill_count: 0
    .symbol:         _Z11fill_kernelIiZ21hipblaslt_init_deviceIiEv8ABC_dims24hipblaslt_initializationbPT_mmmmmEUlmE4_EvS4_mmT0_.kd
    .uniform_work_group_size: 1
    .uses_dynamic_stack: false
    .vgpr_count:     12
    .vgpr_spill_count: 0
    .wavefront_size: 32
  - .args:
      - .address_space:  global
        .offset:         0
        .size:           8
        .value_kind:     global_buffer
      - .offset:         8
        .size:           8
        .value_kind:     by_value
      - .offset:         16
        .size:           8
        .value_kind:     by_value
      - .offset:         24
        .size:           1
        .value_kind:     by_value
      - .offset:         32
        .size:           4
        .value_kind:     hidden_block_count_x
      - .offset:         36
        .size:           4
        .value_kind:     hidden_block_count_y
      - .offset:         40
        .size:           4
        .value_kind:     hidden_block_count_z
      - .offset:         44
        .size:           2
        .value_kind:     hidden_group_size_x
      - .offset:         46
        .size:           2
        .value_kind:     hidden_group_size_y
      - .offset:         48
        .size:           2
        .value_kind:     hidden_group_size_z
      - .offset:         50
        .size:           2
        .value_kind:     hidden_remainder_x
      - .offset:         52
        .size:           2
        .value_kind:     hidden_remainder_y
      - .offset:         54
        .size:           2
        .value_kind:     hidden_remainder_z
      - .offset:         72
        .size:           8
        .value_kind:     hidden_global_offset_x
      - .offset:         80
        .size:           8
        .value_kind:     hidden_global_offset_y
      - .offset:         88
        .size:           8
        .value_kind:     hidden_global_offset_z
      - .offset:         96
        .size:           2
        .value_kind:     hidden_grid_dims
    .group_segment_fixed_size: 0
    .kernarg_segment_align: 8
    .kernarg_segment_size: 288
    .language:       OpenCL C
    .language_version:
      - 2
      - 0
    .max_flat_workgroup_size: 1024
    .name:           _Z11fill_kernelIiZ21hipblaslt_init_deviceIiEv8ABC_dims24hipblaslt_initializationbPT_mmmmmEUlmE5_EvS4_mmT0_
    .private_segment_fixed_size: 0
    .sgpr_count:     10
    .sgpr_spill_count: 0
    .symbol:         _Z11fill_kernelIiZ21hipblaslt_init_deviceIiEv8ABC_dims24hipblaslt_initializationbPT_mmmmmEUlmE5_EvS4_mmT0_.kd
    .uniform_work_group_size: 1
    .uses_dynamic_stack: false
    .vgpr_count:     3
    .vgpr_spill_count: 0
    .wavefront_size: 32
  - .args:
      - .address_space:  global
        .offset:         0
        .size:           8
        .value_kind:     global_buffer
      - .offset:         8
        .size:           8
        .value_kind:     by_value
      - .offset:         16
        .size:           8
        .value_kind:     by_value
      - .offset:         24
        .size:           1
        .value_kind:     by_value
      - .offset:         32
        .size:           4
        .value_kind:     hidden_block_count_x
      - .offset:         36
        .size:           4
        .value_kind:     hidden_block_count_y
      - .offset:         40
        .size:           4
        .value_kind:     hidden_block_count_z
      - .offset:         44
        .size:           2
        .value_kind:     hidden_group_size_x
      - .offset:         46
        .size:           2
        .value_kind:     hidden_group_size_y
      - .offset:         48
        .size:           2
        .value_kind:     hidden_group_size_z
      - .offset:         50
        .size:           2
        .value_kind:     hidden_remainder_x
      - .offset:         52
        .size:           2
        .value_kind:     hidden_remainder_y
      - .offset:         54
        .size:           2
        .value_kind:     hidden_remainder_z
      - .offset:         72
        .size:           8
        .value_kind:     hidden_global_offset_x
      - .offset:         80
        .size:           8
        .value_kind:     hidden_global_offset_y
      - .offset:         88
        .size:           8
        .value_kind:     hidden_global_offset_z
      - .offset:         96
        .size:           2
        .value_kind:     hidden_grid_dims
    .group_segment_fixed_size: 0
    .kernarg_segment_align: 8
    .kernarg_segment_size: 288
    .language:       OpenCL C
    .language_version:
      - 2
      - 0
    .max_flat_workgroup_size: 1024
    .name:           _Z11fill_kernelIiZ21hipblaslt_init_deviceIiEv8ABC_dims24hipblaslt_initializationbPT_mmmmmEUlmE6_EvS4_mmT0_
    .private_segment_fixed_size: 0
    .sgpr_count:     10
    .sgpr_spill_count: 0
    .symbol:         _Z11fill_kernelIiZ21hipblaslt_init_deviceIiEv8ABC_dims24hipblaslt_initializationbPT_mmmmmEUlmE6_EvS4_mmT0_.kd
    .uniform_work_group_size: 1
    .uses_dynamic_stack: false
    .vgpr_count:     4
    .vgpr_spill_count: 0
    .wavefront_size: 32
  - .args:
      - .address_space:  global
        .offset:         0
        .size:           8
        .value_kind:     global_buffer
      - .offset:         8
        .size:           8
        .value_kind:     by_value
      - .offset:         16
        .size:           8
        .value_kind:     by_value
      - .offset:         24
        .size:           1
        .value_kind:     by_value
      - .offset:         32
        .size:           4
        .value_kind:     hidden_block_count_x
      - .offset:         36
        .size:           4
        .value_kind:     hidden_block_count_y
      - .offset:         40
        .size:           4
        .value_kind:     hidden_block_count_z
      - .offset:         44
        .size:           2
        .value_kind:     hidden_group_size_x
      - .offset:         46
        .size:           2
        .value_kind:     hidden_group_size_y
      - .offset:         48
        .size:           2
        .value_kind:     hidden_group_size_z
      - .offset:         50
        .size:           2
        .value_kind:     hidden_remainder_x
      - .offset:         52
        .size:           2
        .value_kind:     hidden_remainder_y
      - .offset:         54
        .size:           2
        .value_kind:     hidden_remainder_z
      - .offset:         72
        .size:           8
        .value_kind:     hidden_global_offset_x
      - .offset:         80
        .size:           8
        .value_kind:     hidden_global_offset_y
      - .offset:         88
        .size:           8
        .value_kind:     hidden_global_offset_z
      - .offset:         96
        .size:           2
        .value_kind:     hidden_grid_dims
    .group_segment_fixed_size: 0
    .kernarg_segment_align: 8
    .kernarg_segment_size: 288
    .language:       OpenCL C
    .language_version:
      - 2
      - 0
    .max_flat_workgroup_size: 1024
    .name:           _Z11fill_kernelIiZ21hipblaslt_init_deviceIiEv8ABC_dims24hipblaslt_initializationbPT_mmmmmEUlmE7_EvS4_mmT0_
    .private_segment_fixed_size: 0
    .sgpr_count:     10
    .sgpr_spill_count: 0
    .symbol:         _Z11fill_kernelIiZ21hipblaslt_init_deviceIiEv8ABC_dims24hipblaslt_initializationbPT_mmmmmEUlmE7_EvS4_mmT0_.kd
    .uniform_work_group_size: 1
    .uses_dynamic_stack: false
    .vgpr_count:     6
    .vgpr_spill_count: 0
    .wavefront_size: 32
  - .args:
      - .address_space:  global
        .offset:         0
        .size:           8
        .value_kind:     global_buffer
      - .offset:         8
        .size:           8
        .value_kind:     by_value
      - .offset:         16
        .size:           8
        .value_kind:     by_value
      - .offset:         24
        .size:           1
        .value_kind:     by_value
      - .offset:         32
        .size:           4
        .value_kind:     hidden_block_count_x
      - .offset:         36
        .size:           4
        .value_kind:     hidden_block_count_y
      - .offset:         40
        .size:           4
        .value_kind:     hidden_block_count_z
      - .offset:         44
        .size:           2
        .value_kind:     hidden_group_size_x
      - .offset:         46
        .size:           2
        .value_kind:     hidden_group_size_y
      - .offset:         48
        .size:           2
        .value_kind:     hidden_group_size_z
      - .offset:         50
        .size:           2
        .value_kind:     hidden_remainder_x
      - .offset:         52
        .size:           2
        .value_kind:     hidden_remainder_y
      - .offset:         54
        .size:           2
        .value_kind:     hidden_remainder_z
      - .offset:         72
        .size:           8
        .value_kind:     hidden_global_offset_x
      - .offset:         80
        .size:           8
        .value_kind:     hidden_global_offset_y
      - .offset:         88
        .size:           8
        .value_kind:     hidden_global_offset_z
      - .offset:         96
        .size:           2
        .value_kind:     hidden_grid_dims
    .group_segment_fixed_size: 0
    .kernarg_segment_align: 8
    .kernarg_segment_size: 288
    .language:       OpenCL C
    .language_version:
      - 2
      - 0
    .max_flat_workgroup_size: 1024
    .name:           _Z11fill_kernelIiZ21hipblaslt_init_deviceIiEv8ABC_dims24hipblaslt_initializationbPT_mmmmmEUlmE8_EvS4_mmT0_
    .private_segment_fixed_size: 0
    .sgpr_count:     10
    .sgpr_spill_count: 0
    .symbol:         _Z11fill_kernelIiZ21hipblaslt_init_deviceIiEv8ABC_dims24hipblaslt_initializationbPT_mmmmmEUlmE8_EvS4_mmT0_.kd
    .uniform_work_group_size: 1
    .uses_dynamic_stack: false
    .vgpr_count:     4
    .vgpr_spill_count: 0
    .wavefront_size: 32
  - .args:
      - .address_space:  global
        .offset:         0
        .size:           8
        .value_kind:     global_buffer
      - .offset:         8
        .size:           8
        .value_kind:     by_value
      - .offset:         16
        .size:           8
        .value_kind:     by_value
      - .offset:         24
        .size:           4
        .value_kind:     by_value
      - .offset:         32
        .size:           4
        .value_kind:     hidden_block_count_x
      - .offset:         36
        .size:           4
        .value_kind:     hidden_block_count_y
      - .offset:         40
        .size:           4
        .value_kind:     hidden_block_count_z
      - .offset:         44
        .size:           2
        .value_kind:     hidden_group_size_x
      - .offset:         46
        .size:           2
        .value_kind:     hidden_group_size_y
      - .offset:         48
        .size:           2
        .value_kind:     hidden_group_size_z
      - .offset:         50
        .size:           2
        .value_kind:     hidden_remainder_x
      - .offset:         52
        .size:           2
        .value_kind:     hidden_remainder_y
      - .offset:         54
        .size:           2
        .value_kind:     hidden_remainder_z
      - .offset:         72
        .size:           8
        .value_kind:     hidden_global_offset_x
      - .offset:         80
        .size:           8
        .value_kind:     hidden_global_offset_y
      - .offset:         88
        .size:           8
        .value_kind:     hidden_global_offset_z
      - .offset:         96
        .size:           2
        .value_kind:     hidden_grid_dims
    .group_segment_fixed_size: 0
    .kernarg_segment_align: 8
    .kernarg_segment_size: 288
    .language:       OpenCL C
    .language_version:
      - 2
      - 0
    .max_flat_workgroup_size: 1024
    .name:           _Z11fill_kernelIiZ21hipblaslt_init_deviceIiEv8ABC_dims24hipblaslt_initializationbPT_mmmmmEUlmE9_EvS4_mmT0_
    .private_segment_fixed_size: 0
    .sgpr_count:     12
    .sgpr_spill_count: 0
    .symbol:         _Z11fill_kernelIiZ21hipblaslt_init_deviceIiEv8ABC_dims24hipblaslt_initializationbPT_mmmmmEUlmE9_EvS4_mmT0_.kd
    .uniform_work_group_size: 1
    .uses_dynamic_stack: false
    .vgpr_count:     22
    .vgpr_spill_count: 0
    .wavefront_size: 32
  - .args:
      - .address_space:  global
        .offset:         0
        .size:           8
        .value_kind:     global_buffer
      - .offset:         8
        .size:           8
        .value_kind:     by_value
      - .offset:         16
        .size:           8
        .value_kind:     by_value
      - .offset:         24
        .size:           100
        .value_kind:     by_value
      - .offset:         128
        .size:           4
        .value_kind:     hidden_block_count_x
      - .offset:         132
        .size:           4
        .value_kind:     hidden_block_count_y
      - .offset:         136
        .size:           4
        .value_kind:     hidden_block_count_z
      - .offset:         140
        .size:           2
        .value_kind:     hidden_group_size_x
      - .offset:         142
        .size:           2
        .value_kind:     hidden_group_size_y
      - .offset:         144
        .size:           2
        .value_kind:     hidden_group_size_z
      - .offset:         146
        .size:           2
        .value_kind:     hidden_remainder_x
      - .offset:         148
        .size:           2
        .value_kind:     hidden_remainder_y
      - .offset:         150
        .size:           2
        .value_kind:     hidden_remainder_z
      - .offset:         168
        .size:           8
        .value_kind:     hidden_global_offset_x
      - .offset:         176
        .size:           8
        .value_kind:     hidden_global_offset_y
      - .offset:         184
        .size:           8
        .value_kind:     hidden_global_offset_z
      - .offset:         192
        .size:           2
        .value_kind:     hidden_grid_dims
    .group_segment_fixed_size: 0
    .kernarg_segment_align: 8
    .kernarg_segment_size: 384
    .language:       OpenCL C
    .language_version:
      - 2
      - 0
    .max_flat_workgroup_size: 1024
    .name:           _Z11fill_kernelIaZ21hipblaslt_init_deviceIaEv8ABC_dims24hipblaslt_initializationbPT_mmmmmEUlmE_EvS4_mmT0_
    .private_segment_fixed_size: 0
    .sgpr_count:     10
    .sgpr_spill_count: 0
    .symbol:         _Z11fill_kernelIaZ21hipblaslt_init_deviceIaEv8ABC_dims24hipblaslt_initializationbPT_mmmmmEUlmE_EvS4_mmT0_.kd
    .uniform_work_group_size: 1
    .uses_dynamic_stack: false
    .vgpr_count:     6
    .vgpr_spill_count: 0
    .wavefront_size: 32
  - .args:
      - .address_space:  global
        .offset:         0
        .size:           8
        .value_kind:     global_buffer
      - .offset:         8
        .size:           8
        .value_kind:     by_value
      - .offset:         16
        .size:           8
        .value_kind:     by_value
      - .offset:         24
        .size:           1
        .value_kind:     by_value
      - .offset:         32
        .size:           4
        .value_kind:     hidden_block_count_x
      - .offset:         36
        .size:           4
        .value_kind:     hidden_block_count_y
      - .offset:         40
        .size:           4
        .value_kind:     hidden_block_count_z
      - .offset:         44
        .size:           2
        .value_kind:     hidden_group_size_x
      - .offset:         46
        .size:           2
        .value_kind:     hidden_group_size_y
      - .offset:         48
        .size:           2
        .value_kind:     hidden_group_size_z
      - .offset:         50
        .size:           2
        .value_kind:     hidden_remainder_x
      - .offset:         52
        .size:           2
        .value_kind:     hidden_remainder_y
      - .offset:         54
        .size:           2
        .value_kind:     hidden_remainder_z
      - .offset:         72
        .size:           8
        .value_kind:     hidden_global_offset_x
      - .offset:         80
        .size:           8
        .value_kind:     hidden_global_offset_y
      - .offset:         88
        .size:           8
        .value_kind:     hidden_global_offset_z
      - .offset:         96
        .size:           2
        .value_kind:     hidden_grid_dims
    .group_segment_fixed_size: 0
    .kernarg_segment_align: 8
    .kernarg_segment_size: 288
    .language:       OpenCL C
    .language_version:
      - 2
      - 0
    .max_flat_workgroup_size: 1024
    .name:           _Z11fill_kernelIaZ21hipblaslt_init_deviceIaEv8ABC_dims24hipblaslt_initializationbPT_mmmmmEUlmE0_EvS4_mmT0_
    .private_segment_fixed_size: 0
    .sgpr_count:     10
    .sgpr_spill_count: 0
    .symbol:         _Z11fill_kernelIaZ21hipblaslt_init_deviceIaEv8ABC_dims24hipblaslt_initializationbPT_mmmmmEUlmE0_EvS4_mmT0_.kd
    .uniform_work_group_size: 1
    .uses_dynamic_stack: false
    .vgpr_count:     6
    .vgpr_spill_count: 0
    .wavefront_size: 32
  - .args:
      - .address_space:  global
        .offset:         0
        .size:           8
        .value_kind:     global_buffer
      - .offset:         8
        .size:           8
        .value_kind:     by_value
      - .offset:         16
        .size:           8
        .value_kind:     by_value
      - .offset:         24
        .size:           16
        .value_kind:     by_value
      - .offset:         40
        .size:           4
        .value_kind:     hidden_block_count_x
      - .offset:         44
        .size:           4
        .value_kind:     hidden_block_count_y
      - .offset:         48
        .size:           4
        .value_kind:     hidden_block_count_z
      - .offset:         52
        .size:           2
        .value_kind:     hidden_group_size_x
      - .offset:         54
        .size:           2
        .value_kind:     hidden_group_size_y
      - .offset:         56
        .size:           2
        .value_kind:     hidden_group_size_z
      - .offset:         58
        .size:           2
        .value_kind:     hidden_remainder_x
      - .offset:         60
        .size:           2
        .value_kind:     hidden_remainder_y
      - .offset:         62
        .size:           2
        .value_kind:     hidden_remainder_z
      - .offset:         80
        .size:           8
        .value_kind:     hidden_global_offset_x
      - .offset:         88
        .size:           8
        .value_kind:     hidden_global_offset_y
      - .offset:         96
        .size:           8
        .value_kind:     hidden_global_offset_z
      - .offset:         104
        .size:           2
        .value_kind:     hidden_grid_dims
    .group_segment_fixed_size: 0
    .kernarg_segment_align: 8
    .kernarg_segment_size: 296
    .language:       OpenCL C
    .language_version:
      - 2
      - 0
    .max_flat_workgroup_size: 1024
    .name:           _Z11fill_kernelIaZ21hipblaslt_init_deviceIaEv8ABC_dims24hipblaslt_initializationbPT_mmmmmEUlmE1_EvS4_mmT0_
    .private_segment_fixed_size: 0
    .sgpr_count:     22
    .sgpr_spill_count: 0
    .symbol:         _Z11fill_kernelIaZ21hipblaslt_init_deviceIaEv8ABC_dims24hipblaslt_initializationbPT_mmmmmEUlmE1_EvS4_mmT0_.kd
    .uniform_work_group_size: 1
    .uses_dynamic_stack: false
    .vgpr_count:     14
    .vgpr_spill_count: 0
    .wavefront_size: 32
  - .args:
      - .address_space:  global
        .offset:         0
        .size:           8
        .value_kind:     global_buffer
      - .offset:         8
        .size:           8
        .value_kind:     by_value
      - .offset:         16
        .size:           8
        .value_kind:     by_value
      - .offset:         24
        .size:           32
        .value_kind:     by_value
      - .offset:         56
        .size:           4
        .value_kind:     hidden_block_count_x
      - .offset:         60
        .size:           4
        .value_kind:     hidden_block_count_y
      - .offset:         64
        .size:           4
        .value_kind:     hidden_block_count_z
      - .offset:         68
        .size:           2
        .value_kind:     hidden_group_size_x
      - .offset:         70
        .size:           2
        .value_kind:     hidden_group_size_y
      - .offset:         72
        .size:           2
        .value_kind:     hidden_group_size_z
      - .offset:         74
        .size:           2
        .value_kind:     hidden_remainder_x
      - .offset:         76
        .size:           2
        .value_kind:     hidden_remainder_y
      - .offset:         78
        .size:           2
        .value_kind:     hidden_remainder_z
      - .offset:         96
        .size:           8
        .value_kind:     hidden_global_offset_x
      - .offset:         104
        .size:           8
        .value_kind:     hidden_global_offset_y
      - .offset:         112
        .size:           8
        .value_kind:     hidden_global_offset_z
      - .offset:         120
        .size:           2
        .value_kind:     hidden_grid_dims
    .group_segment_fixed_size: 0
    .kernarg_segment_align: 8
    .kernarg_segment_size: 312
    .language:       OpenCL C
    .language_version:
      - 2
      - 0
    .max_flat_workgroup_size: 1024
    .name:           _Z11fill_kernelIaZ21hipblaslt_init_deviceIaEv8ABC_dims24hipblaslt_initializationbPT_mmmmmEUlmE2_EvS4_mmT0_
    .private_segment_fixed_size: 0
    .sgpr_count:     26
    .sgpr_spill_count: 0
    .symbol:         _Z11fill_kernelIaZ21hipblaslt_init_deviceIaEv8ABC_dims24hipblaslt_initializationbPT_mmmmmEUlmE2_EvS4_mmT0_.kd
    .uniform_work_group_size: 1
    .uses_dynamic_stack: false
    .vgpr_count:     34
    .vgpr_spill_count: 0
    .wavefront_size: 32
  - .args:
      - .address_space:  global
        .offset:         0
        .size:           8
        .value_kind:     global_buffer
      - .offset:         8
        .size:           8
        .value_kind:     by_value
      - .offset:         16
        .size:           8
        .value_kind:     by_value
      - .offset:         24
        .size:           32
        .value_kind:     by_value
      - .offset:         56
        .size:           4
        .value_kind:     hidden_block_count_x
      - .offset:         60
        .size:           4
        .value_kind:     hidden_block_count_y
      - .offset:         64
        .size:           4
        .value_kind:     hidden_block_count_z
      - .offset:         68
        .size:           2
        .value_kind:     hidden_group_size_x
      - .offset:         70
        .size:           2
        .value_kind:     hidden_group_size_y
      - .offset:         72
        .size:           2
        .value_kind:     hidden_group_size_z
      - .offset:         74
        .size:           2
        .value_kind:     hidden_remainder_x
      - .offset:         76
        .size:           2
        .value_kind:     hidden_remainder_y
      - .offset:         78
        .size:           2
        .value_kind:     hidden_remainder_z
      - .offset:         96
        .size:           8
        .value_kind:     hidden_global_offset_x
      - .offset:         104
        .size:           8
        .value_kind:     hidden_global_offset_y
      - .offset:         112
        .size:           8
        .value_kind:     hidden_global_offset_z
      - .offset:         120
        .size:           2
        .value_kind:     hidden_grid_dims
    .group_segment_fixed_size: 0
    .kernarg_segment_align: 8
    .kernarg_segment_size: 312
    .language:       OpenCL C
    .language_version:
      - 2
      - 0
    .max_flat_workgroup_size: 1024
    .name:           _Z11fill_kernelIaZ21hipblaslt_init_deviceIaEv8ABC_dims24hipblaslt_initializationbPT_mmmmmEUlmE3_EvS4_mmT0_
    .private_segment_fixed_size: 0
    .sgpr_count:     26
    .sgpr_spill_count: 0
    .symbol:         _Z11fill_kernelIaZ21hipblaslt_init_deviceIaEv8ABC_dims24hipblaslt_initializationbPT_mmmmmEUlmE3_EvS4_mmT0_.kd
    .uniform_work_group_size: 1
    .uses_dynamic_stack: false
    .vgpr_count:     34
    .vgpr_spill_count: 0
    .wavefront_size: 32
  - .args:
      - .address_space:  global
        .offset:         0
        .size:           8
        .value_kind:     global_buffer
      - .offset:         8
        .size:           8
        .value_kind:     by_value
      - .offset:         16
        .size:           8
        .value_kind:     by_value
      - .offset:         24
        .size:           1
        .value_kind:     by_value
      - .offset:         32
        .size:           4
        .value_kind:     hidden_block_count_x
      - .offset:         36
        .size:           4
        .value_kind:     hidden_block_count_y
      - .offset:         40
        .size:           4
        .value_kind:     hidden_block_count_z
      - .offset:         44
        .size:           2
        .value_kind:     hidden_group_size_x
      - .offset:         46
        .size:           2
        .value_kind:     hidden_group_size_y
      - .offset:         48
        .size:           2
        .value_kind:     hidden_group_size_z
      - .offset:         50
        .size:           2
        .value_kind:     hidden_remainder_x
      - .offset:         52
        .size:           2
        .value_kind:     hidden_remainder_y
      - .offset:         54
        .size:           2
        .value_kind:     hidden_remainder_z
      - .offset:         72
        .size:           8
        .value_kind:     hidden_global_offset_x
      - .offset:         80
        .size:           8
        .value_kind:     hidden_global_offset_y
      - .offset:         88
        .size:           8
        .value_kind:     hidden_global_offset_z
      - .offset:         96
        .size:           2
        .value_kind:     hidden_grid_dims
    .group_segment_fixed_size: 0
    .kernarg_segment_align: 8
    .kernarg_segment_size: 288
    .language:       OpenCL C
    .language_version:
      - 2
      - 0
    .max_flat_workgroup_size: 1024
    .name:           _Z11fill_kernelIaZ21hipblaslt_init_deviceIaEv8ABC_dims24hipblaslt_initializationbPT_mmmmmEUlmE4_EvS4_mmT0_
    .private_segment_fixed_size: 0
    .sgpr_count:     12
    .sgpr_spill_count: 0
    .symbol:         _Z11fill_kernelIaZ21hipblaslt_init_deviceIaEv8ABC_dims24hipblaslt_initializationbPT_mmmmmEUlmE4_EvS4_mmT0_.kd
    .uniform_work_group_size: 1
    .uses_dynamic_stack: false
    .vgpr_count:     12
    .vgpr_spill_count: 0
    .wavefront_size: 32
  - .args:
      - .address_space:  global
        .offset:         0
        .size:           8
        .value_kind:     global_buffer
      - .offset:         8
        .size:           8
        .value_kind:     by_value
      - .offset:         16
        .size:           8
        .value_kind:     by_value
      - .offset:         24
        .size:           1
        .value_kind:     by_value
    .group_segment_fixed_size: 0
    .kernarg_segment_align: 8
    .kernarg_segment_size: 28
    .language:       OpenCL C
    .language_version:
      - 2
      - 0
    .max_flat_workgroup_size: 1024
    .name:           _Z11fill_kernelIaZ21hipblaslt_init_deviceIaEv8ABC_dims24hipblaslt_initializationbPT_mmmmmEUlmE5_EvS4_mmT0_
    .private_segment_fixed_size: 0
    .sgpr_count:     0
    .sgpr_spill_count: 0
    .symbol:         _Z11fill_kernelIaZ21hipblaslt_init_deviceIaEv8ABC_dims24hipblaslt_initializationbPT_mmmmmEUlmE5_EvS4_mmT0_.kd
    .uniform_work_group_size: 1
    .uses_dynamic_stack: false
    .vgpr_count:     0
    .vgpr_spill_count: 0
    .wavefront_size: 32
  - .args:
      - .address_space:  global
        .offset:         0
        .size:           8
        .value_kind:     global_buffer
      - .offset:         8
        .size:           8
        .value_kind:     by_value
      - .offset:         16
        .size:           8
        .value_kind:     by_value
      - .offset:         24
        .size:           1
        .value_kind:     by_value
      - .offset:         32
        .size:           4
        .value_kind:     hidden_block_count_x
      - .offset:         36
        .size:           4
        .value_kind:     hidden_block_count_y
      - .offset:         40
        .size:           4
        .value_kind:     hidden_block_count_z
      - .offset:         44
        .size:           2
        .value_kind:     hidden_group_size_x
      - .offset:         46
        .size:           2
        .value_kind:     hidden_group_size_y
      - .offset:         48
        .size:           2
        .value_kind:     hidden_group_size_z
      - .offset:         50
        .size:           2
        .value_kind:     hidden_remainder_x
      - .offset:         52
        .size:           2
        .value_kind:     hidden_remainder_y
      - .offset:         54
        .size:           2
        .value_kind:     hidden_remainder_z
      - .offset:         72
        .size:           8
        .value_kind:     hidden_global_offset_x
      - .offset:         80
        .size:           8
        .value_kind:     hidden_global_offset_y
      - .offset:         88
        .size:           8
        .value_kind:     hidden_global_offset_z
      - .offset:         96
        .size:           2
        .value_kind:     hidden_grid_dims
    .group_segment_fixed_size: 0
    .kernarg_segment_align: 8
    .kernarg_segment_size: 288
    .language:       OpenCL C
    .language_version:
      - 2
      - 0
    .max_flat_workgroup_size: 1024
    .name:           _Z11fill_kernelIaZ21hipblaslt_init_deviceIaEv8ABC_dims24hipblaslt_initializationbPT_mmmmmEUlmE6_EvS4_mmT0_
    .private_segment_fixed_size: 0
    .sgpr_count:     10
    .sgpr_spill_count: 0
    .symbol:         _Z11fill_kernelIaZ21hipblaslt_init_deviceIaEv8ABC_dims24hipblaslt_initializationbPT_mmmmmEUlmE6_EvS4_mmT0_.kd
    .uniform_work_group_size: 1
    .uses_dynamic_stack: false
    .vgpr_count:     4
    .vgpr_spill_count: 0
    .wavefront_size: 32
  - .args:
      - .address_space:  global
        .offset:         0
        .size:           8
        .value_kind:     global_buffer
      - .offset:         8
        .size:           8
        .value_kind:     by_value
      - .offset:         16
        .size:           8
        .value_kind:     by_value
      - .offset:         24
        .size:           1
        .value_kind:     by_value
      - .offset:         32
        .size:           4
        .value_kind:     hidden_block_count_x
      - .offset:         36
        .size:           4
        .value_kind:     hidden_block_count_y
      - .offset:         40
        .size:           4
        .value_kind:     hidden_block_count_z
      - .offset:         44
        .size:           2
        .value_kind:     hidden_group_size_x
      - .offset:         46
        .size:           2
        .value_kind:     hidden_group_size_y
      - .offset:         48
        .size:           2
        .value_kind:     hidden_group_size_z
      - .offset:         50
        .size:           2
        .value_kind:     hidden_remainder_x
      - .offset:         52
        .size:           2
        .value_kind:     hidden_remainder_y
      - .offset:         54
        .size:           2
        .value_kind:     hidden_remainder_z
      - .offset:         72
        .size:           8
        .value_kind:     hidden_global_offset_x
      - .offset:         80
        .size:           8
        .value_kind:     hidden_global_offset_y
      - .offset:         88
        .size:           8
        .value_kind:     hidden_global_offset_z
      - .offset:         96
        .size:           2
        .value_kind:     hidden_grid_dims
    .group_segment_fixed_size: 0
    .kernarg_segment_align: 8
    .kernarg_segment_size: 288
    .language:       OpenCL C
    .language_version:
      - 2
      - 0
    .max_flat_workgroup_size: 1024
    .name:           _Z11fill_kernelIaZ21hipblaslt_init_deviceIaEv8ABC_dims24hipblaslt_initializationbPT_mmmmmEUlmE7_EvS4_mmT0_
    .private_segment_fixed_size: 0
    .sgpr_count:     10
    .sgpr_spill_count: 0
    .symbol:         _Z11fill_kernelIaZ21hipblaslt_init_deviceIaEv8ABC_dims24hipblaslt_initializationbPT_mmmmmEUlmE7_EvS4_mmT0_.kd
    .uniform_work_group_size: 1
    .uses_dynamic_stack: false
    .vgpr_count:     6
    .vgpr_spill_count: 0
    .wavefront_size: 32
  - .args:
      - .address_space:  global
        .offset:         0
        .size:           8
        .value_kind:     global_buffer
      - .offset:         8
        .size:           8
        .value_kind:     by_value
      - .offset:         16
        .size:           8
        .value_kind:     by_value
      - .offset:         24
        .size:           1
        .value_kind:     by_value
      - .offset:         32
        .size:           4
        .value_kind:     hidden_block_count_x
      - .offset:         36
        .size:           4
        .value_kind:     hidden_block_count_y
      - .offset:         40
        .size:           4
        .value_kind:     hidden_block_count_z
      - .offset:         44
        .size:           2
        .value_kind:     hidden_group_size_x
      - .offset:         46
        .size:           2
        .value_kind:     hidden_group_size_y
      - .offset:         48
        .size:           2
        .value_kind:     hidden_group_size_z
      - .offset:         50
        .size:           2
        .value_kind:     hidden_remainder_x
      - .offset:         52
        .size:           2
        .value_kind:     hidden_remainder_y
      - .offset:         54
        .size:           2
        .value_kind:     hidden_remainder_z
      - .offset:         72
        .size:           8
        .value_kind:     hidden_global_offset_x
      - .offset:         80
        .size:           8
        .value_kind:     hidden_global_offset_y
      - .offset:         88
        .size:           8
        .value_kind:     hidden_global_offset_z
      - .offset:         96
        .size:           2
        .value_kind:     hidden_grid_dims
    .group_segment_fixed_size: 0
    .kernarg_segment_align: 8
    .kernarg_segment_size: 288
    .language:       OpenCL C
    .language_version:
      - 2
      - 0
    .max_flat_workgroup_size: 1024
    .name:           _Z11fill_kernelIaZ21hipblaslt_init_deviceIaEv8ABC_dims24hipblaslt_initializationbPT_mmmmmEUlmE8_EvS4_mmT0_
    .private_segment_fixed_size: 0
    .sgpr_count:     10
    .sgpr_spill_count: 0
    .symbol:         _Z11fill_kernelIaZ21hipblaslt_init_deviceIaEv8ABC_dims24hipblaslt_initializationbPT_mmmmmEUlmE8_EvS4_mmT0_.kd
    .uniform_work_group_size: 1
    .uses_dynamic_stack: false
    .vgpr_count:     4
    .vgpr_spill_count: 0
    .wavefront_size: 32
  - .args:
      - .address_space:  global
        .offset:         0
        .size:           8
        .value_kind:     global_buffer
      - .offset:         8
        .size:           8
        .value_kind:     by_value
      - .offset:         16
        .size:           8
        .value_kind:     by_value
      - .offset:         24
        .size:           4
        .value_kind:     by_value
      - .offset:         32
        .size:           4
        .value_kind:     hidden_block_count_x
      - .offset:         36
        .size:           4
        .value_kind:     hidden_block_count_y
      - .offset:         40
        .size:           4
        .value_kind:     hidden_block_count_z
      - .offset:         44
        .size:           2
        .value_kind:     hidden_group_size_x
      - .offset:         46
        .size:           2
        .value_kind:     hidden_group_size_y
      - .offset:         48
        .size:           2
        .value_kind:     hidden_group_size_z
      - .offset:         50
        .size:           2
        .value_kind:     hidden_remainder_x
      - .offset:         52
        .size:           2
        .value_kind:     hidden_remainder_y
      - .offset:         54
        .size:           2
        .value_kind:     hidden_remainder_z
      - .offset:         72
        .size:           8
        .value_kind:     hidden_global_offset_x
      - .offset:         80
        .size:           8
        .value_kind:     hidden_global_offset_y
      - .offset:         88
        .size:           8
        .value_kind:     hidden_global_offset_z
      - .offset:         96
        .size:           2
        .value_kind:     hidden_grid_dims
    .group_segment_fixed_size: 0
    .kernarg_segment_align: 8
    .kernarg_segment_size: 288
    .language:       OpenCL C
    .language_version:
      - 2
      - 0
    .max_flat_workgroup_size: 1024
    .name:           _Z11fill_kernelIaZ21hipblaslt_init_deviceIaEv8ABC_dims24hipblaslt_initializationbPT_mmmmmEUlmE9_EvS4_mmT0_
    .private_segment_fixed_size: 0
    .sgpr_count:     12
    .sgpr_spill_count: 0
    .symbol:         _Z11fill_kernelIaZ21hipblaslt_init_deviceIaEv8ABC_dims24hipblaslt_initializationbPT_mmmmmEUlmE9_EvS4_mmT0_.kd
    .uniform_work_group_size: 1
    .uses_dynamic_stack: false
    .vgpr_count:     22
    .vgpr_spill_count: 0
    .wavefront_size: 32
amdhsa.target:   amdgcn-amd-amdhsa--gfx1250
amdhsa.version:
  - 1
  - 2
...

	.end_amdgpu_metadata
